;; amdgpu-corpus repo=ROCm/rocFFT kind=compiled arch=gfx1201 opt=O3
	.text
	.amdgcn_target "amdgcn-amd-amdhsa--gfx1201"
	.amdhsa_code_object_version 6
	.protected	fft_rtc_fwd_len2040_factors_17_4_3_10_wgs_170_tpt_170_halfLds_dp_ip_CI_unitstride_sbrr_C2R_dirReg ; -- Begin function fft_rtc_fwd_len2040_factors_17_4_3_10_wgs_170_tpt_170_halfLds_dp_ip_CI_unitstride_sbrr_C2R_dirReg
	.globl	fft_rtc_fwd_len2040_factors_17_4_3_10_wgs_170_tpt_170_halfLds_dp_ip_CI_unitstride_sbrr_C2R_dirReg
	.p2align	8
	.type	fft_rtc_fwd_len2040_factors_17_4_3_10_wgs_170_tpt_170_halfLds_dp_ip_CI_unitstride_sbrr_C2R_dirReg,@function
fft_rtc_fwd_len2040_factors_17_4_3_10_wgs_170_tpt_170_halfLds_dp_ip_CI_unitstride_sbrr_C2R_dirReg: ; @fft_rtc_fwd_len2040_factors_17_4_3_10_wgs_170_tpt_170_halfLds_dp_ip_CI_unitstride_sbrr_C2R_dirReg
; %bb.0:
	s_clause 0x2
	s_load_b128 s[4:7], s[0:1], 0x0
	s_load_b64 s[8:9], s[0:1], 0x50
	s_load_b64 s[10:11], s[0:1], 0x18
	v_mul_u32_u24_e32 v1, 0x182, v0
	v_mov_b32_e32 v3, 0
	s_delay_alu instid0(VALU_DEP_2) | instskip(NEXT) | instid1(VALU_DEP_1)
	v_lshrrev_b32_e32 v1, 16, v1
	v_add_nc_u32_e32 v5, ttmp9, v1
	v_mov_b32_e32 v1, 0
	v_mov_b32_e32 v2, 0
	;; [unrolled: 1-line block ×3, first 2 shown]
	s_wait_kmcnt 0x0
	v_cmp_lt_u64_e64 s2, s[6:7], 2
	s_delay_alu instid0(VALU_DEP_1)
	s_and_b32 vcc_lo, exec_lo, s2
	s_cbranch_vccnz .LBB0_8
; %bb.1:
	s_load_b64 s[2:3], s[0:1], 0x10
	v_mov_b32_e32 v1, 0
	v_mov_b32_e32 v2, 0
	s_add_nc_u64 s[12:13], s[10:11], 8
	s_mov_b64 s[14:15], 1
	s_wait_kmcnt 0x0
	s_add_nc_u64 s[16:17], s[2:3], 8
	s_mov_b32 s3, 0
.LBB0_2:                                ; =>This Inner Loop Header: Depth=1
	s_load_b64 s[18:19], s[16:17], 0x0
                                        ; implicit-def: $vgpr7_vgpr8
	s_mov_b32 s2, exec_lo
	s_wait_kmcnt 0x0
	v_or_b32_e32 v4, s19, v6
	s_delay_alu instid0(VALU_DEP_1)
	v_cmpx_ne_u64_e32 0, v[3:4]
	s_wait_alu 0xfffe
	s_xor_b32 s20, exec_lo, s2
	s_cbranch_execz .LBB0_4
; %bb.3:                                ;   in Loop: Header=BB0_2 Depth=1
	s_cvt_f32_u32 s2, s18
	s_cvt_f32_u32 s21, s19
	s_sub_nc_u64 s[24:25], 0, s[18:19]
	s_wait_alu 0xfffe
	s_delay_alu instid0(SALU_CYCLE_1) | instskip(SKIP_1) | instid1(SALU_CYCLE_2)
	s_fmamk_f32 s2, s21, 0x4f800000, s2
	s_wait_alu 0xfffe
	v_s_rcp_f32 s2, s2
	s_delay_alu instid0(TRANS32_DEP_1) | instskip(SKIP_1) | instid1(SALU_CYCLE_2)
	s_mul_f32 s2, s2, 0x5f7ffffc
	s_wait_alu 0xfffe
	s_mul_f32 s21, s2, 0x2f800000
	s_wait_alu 0xfffe
	s_delay_alu instid0(SALU_CYCLE_2) | instskip(SKIP_1) | instid1(SALU_CYCLE_2)
	s_trunc_f32 s21, s21
	s_wait_alu 0xfffe
	s_fmamk_f32 s2, s21, 0xcf800000, s2
	s_cvt_u32_f32 s23, s21
	s_wait_alu 0xfffe
	s_delay_alu instid0(SALU_CYCLE_1) | instskip(SKIP_1) | instid1(SALU_CYCLE_2)
	s_cvt_u32_f32 s22, s2
	s_wait_alu 0xfffe
	s_mul_u64 s[26:27], s[24:25], s[22:23]
	s_wait_alu 0xfffe
	s_mul_hi_u32 s29, s22, s27
	s_mul_i32 s28, s22, s27
	s_mul_hi_u32 s2, s22, s26
	s_mul_i32 s30, s23, s26
	s_wait_alu 0xfffe
	s_add_nc_u64 s[28:29], s[2:3], s[28:29]
	s_mul_hi_u32 s21, s23, s26
	s_mul_hi_u32 s31, s23, s27
	s_add_co_u32 s2, s28, s30
	s_wait_alu 0xfffe
	s_add_co_ci_u32 s2, s29, s21
	s_mul_i32 s26, s23, s27
	s_add_co_ci_u32 s27, s31, 0
	s_wait_alu 0xfffe
	s_add_nc_u64 s[26:27], s[2:3], s[26:27]
	s_wait_alu 0xfffe
	v_add_co_u32 v4, s2, s22, s26
	s_delay_alu instid0(VALU_DEP_1) | instskip(SKIP_1) | instid1(VALU_DEP_1)
	s_cmp_lg_u32 s2, 0
	s_add_co_ci_u32 s23, s23, s27
	v_readfirstlane_b32 s22, v4
	s_wait_alu 0xfffe
	s_delay_alu instid0(VALU_DEP_1)
	s_mul_u64 s[24:25], s[24:25], s[22:23]
	s_wait_alu 0xfffe
	s_mul_hi_u32 s27, s22, s25
	s_mul_i32 s26, s22, s25
	s_mul_hi_u32 s2, s22, s24
	s_mul_i32 s28, s23, s24
	s_wait_alu 0xfffe
	s_add_nc_u64 s[26:27], s[2:3], s[26:27]
	s_mul_hi_u32 s21, s23, s24
	s_mul_hi_u32 s22, s23, s25
	s_wait_alu 0xfffe
	s_add_co_u32 s2, s26, s28
	s_add_co_ci_u32 s2, s27, s21
	s_mul_i32 s24, s23, s25
	s_add_co_ci_u32 s25, s22, 0
	s_wait_alu 0xfffe
	s_add_nc_u64 s[24:25], s[2:3], s[24:25]
	s_wait_alu 0xfffe
	v_add_co_u32 v4, s2, v4, s24
	s_delay_alu instid0(VALU_DEP_1) | instskip(SKIP_1) | instid1(VALU_DEP_1)
	s_cmp_lg_u32 s2, 0
	s_add_co_ci_u32 s2, s23, s25
	v_mul_hi_u32 v13, v5, v4
	s_wait_alu 0xfffe
	v_mad_co_u64_u32 v[7:8], null, v5, s2, 0
	v_mad_co_u64_u32 v[9:10], null, v6, v4, 0
	;; [unrolled: 1-line block ×3, first 2 shown]
	s_delay_alu instid0(VALU_DEP_3) | instskip(SKIP_1) | instid1(VALU_DEP_4)
	v_add_co_u32 v4, vcc_lo, v13, v7
	s_wait_alu 0xfffd
	v_add_co_ci_u32_e32 v7, vcc_lo, 0, v8, vcc_lo
	s_delay_alu instid0(VALU_DEP_2) | instskip(SKIP_1) | instid1(VALU_DEP_2)
	v_add_co_u32 v4, vcc_lo, v4, v9
	s_wait_alu 0xfffd
	v_add_co_ci_u32_e32 v4, vcc_lo, v7, v10, vcc_lo
	s_wait_alu 0xfffd
	v_add_co_ci_u32_e32 v7, vcc_lo, 0, v12, vcc_lo
	s_delay_alu instid0(VALU_DEP_2) | instskip(SKIP_1) | instid1(VALU_DEP_2)
	v_add_co_u32 v4, vcc_lo, v4, v11
	s_wait_alu 0xfffd
	v_add_co_ci_u32_e32 v9, vcc_lo, 0, v7, vcc_lo
	s_delay_alu instid0(VALU_DEP_2) | instskip(SKIP_1) | instid1(VALU_DEP_3)
	v_mul_lo_u32 v10, s19, v4
	v_mad_co_u64_u32 v[7:8], null, s18, v4, 0
	v_mul_lo_u32 v11, s18, v9
	s_delay_alu instid0(VALU_DEP_2) | instskip(NEXT) | instid1(VALU_DEP_2)
	v_sub_co_u32 v7, vcc_lo, v5, v7
	v_add3_u32 v8, v8, v11, v10
	s_delay_alu instid0(VALU_DEP_1) | instskip(SKIP_1) | instid1(VALU_DEP_1)
	v_sub_nc_u32_e32 v10, v6, v8
	s_wait_alu 0xfffd
	v_subrev_co_ci_u32_e64 v10, s2, s19, v10, vcc_lo
	v_add_co_u32 v11, s2, v4, 2
	s_wait_alu 0xf1ff
	v_add_co_ci_u32_e64 v12, s2, 0, v9, s2
	v_sub_co_u32 v13, s2, v7, s18
	v_sub_co_ci_u32_e32 v8, vcc_lo, v6, v8, vcc_lo
	s_wait_alu 0xf1ff
	v_subrev_co_ci_u32_e64 v10, s2, 0, v10, s2
	s_delay_alu instid0(VALU_DEP_3) | instskip(NEXT) | instid1(VALU_DEP_3)
	v_cmp_le_u32_e32 vcc_lo, s18, v13
	v_cmp_eq_u32_e64 s2, s19, v8
	s_wait_alu 0xfffd
	v_cndmask_b32_e64 v13, 0, -1, vcc_lo
	v_cmp_le_u32_e32 vcc_lo, s19, v10
	s_wait_alu 0xfffd
	v_cndmask_b32_e64 v14, 0, -1, vcc_lo
	v_cmp_le_u32_e32 vcc_lo, s18, v7
	;; [unrolled: 3-line block ×3, first 2 shown]
	s_wait_alu 0xfffd
	v_cndmask_b32_e64 v15, 0, -1, vcc_lo
	v_cmp_eq_u32_e32 vcc_lo, s19, v10
	s_wait_alu 0xf1ff
	s_delay_alu instid0(VALU_DEP_2)
	v_cndmask_b32_e64 v7, v15, v7, s2
	s_wait_alu 0xfffd
	v_cndmask_b32_e32 v10, v14, v13, vcc_lo
	v_add_co_u32 v13, vcc_lo, v4, 1
	s_wait_alu 0xfffd
	v_add_co_ci_u32_e32 v14, vcc_lo, 0, v9, vcc_lo
	s_delay_alu instid0(VALU_DEP_3) | instskip(SKIP_2) | instid1(VALU_DEP_3)
	v_cmp_ne_u32_e32 vcc_lo, 0, v10
	s_wait_alu 0xfffd
	v_cndmask_b32_e32 v10, v13, v11, vcc_lo
	v_cndmask_b32_e32 v8, v14, v12, vcc_lo
	v_cmp_ne_u32_e32 vcc_lo, 0, v7
	s_wait_alu 0xfffd
	s_delay_alu instid0(VALU_DEP_2)
	v_dual_cndmask_b32 v7, v4, v10 :: v_dual_cndmask_b32 v8, v9, v8
.LBB0_4:                                ;   in Loop: Header=BB0_2 Depth=1
	s_wait_alu 0xfffe
	s_and_not1_saveexec_b32 s2, s20
	s_cbranch_execz .LBB0_6
; %bb.5:                                ;   in Loop: Header=BB0_2 Depth=1
	v_cvt_f32_u32_e32 v4, s18
	s_sub_co_i32 s20, 0, s18
	s_delay_alu instid0(VALU_DEP_1) | instskip(NEXT) | instid1(TRANS32_DEP_1)
	v_rcp_iflag_f32_e32 v4, v4
	v_mul_f32_e32 v4, 0x4f7ffffe, v4
	s_delay_alu instid0(VALU_DEP_1) | instskip(SKIP_1) | instid1(VALU_DEP_1)
	v_cvt_u32_f32_e32 v4, v4
	s_wait_alu 0xfffe
	v_mul_lo_u32 v7, s20, v4
	s_delay_alu instid0(VALU_DEP_1) | instskip(NEXT) | instid1(VALU_DEP_1)
	v_mul_hi_u32 v7, v4, v7
	v_add_nc_u32_e32 v4, v4, v7
	s_delay_alu instid0(VALU_DEP_1) | instskip(NEXT) | instid1(VALU_DEP_1)
	v_mul_hi_u32 v4, v5, v4
	v_mul_lo_u32 v7, v4, s18
	v_add_nc_u32_e32 v8, 1, v4
	s_delay_alu instid0(VALU_DEP_2) | instskip(NEXT) | instid1(VALU_DEP_1)
	v_sub_nc_u32_e32 v7, v5, v7
	v_subrev_nc_u32_e32 v9, s18, v7
	v_cmp_le_u32_e32 vcc_lo, s18, v7
	s_wait_alu 0xfffd
	s_delay_alu instid0(VALU_DEP_2) | instskip(NEXT) | instid1(VALU_DEP_1)
	v_dual_cndmask_b32 v7, v7, v9 :: v_dual_cndmask_b32 v4, v4, v8
	v_cmp_le_u32_e32 vcc_lo, s18, v7
	s_delay_alu instid0(VALU_DEP_2) | instskip(SKIP_1) | instid1(VALU_DEP_1)
	v_add_nc_u32_e32 v8, 1, v4
	s_wait_alu 0xfffd
	v_dual_cndmask_b32 v7, v4, v8 :: v_dual_mov_b32 v8, v3
.LBB0_6:                                ;   in Loop: Header=BB0_2 Depth=1
	s_wait_alu 0xfffe
	s_or_b32 exec_lo, exec_lo, s2
	s_load_b64 s[20:21], s[12:13], 0x0
	s_delay_alu instid0(VALU_DEP_1)
	v_mul_lo_u32 v4, v8, s18
	v_mul_lo_u32 v11, v7, s19
	v_mad_co_u64_u32 v[9:10], null, v7, s18, 0
	s_add_nc_u64 s[14:15], s[14:15], 1
	s_add_nc_u64 s[12:13], s[12:13], 8
	s_wait_alu 0xfffe
	v_cmp_ge_u64_e64 s2, s[14:15], s[6:7]
	s_add_nc_u64 s[16:17], s[16:17], 8
	s_delay_alu instid0(VALU_DEP_2) | instskip(NEXT) | instid1(VALU_DEP_3)
	v_add3_u32 v4, v10, v11, v4
	v_sub_co_u32 v5, vcc_lo, v5, v9
	s_wait_alu 0xfffd
	s_delay_alu instid0(VALU_DEP_2) | instskip(SKIP_3) | instid1(VALU_DEP_2)
	v_sub_co_ci_u32_e32 v4, vcc_lo, v6, v4, vcc_lo
	s_and_b32 vcc_lo, exec_lo, s2
	s_wait_kmcnt 0x0
	v_mul_lo_u32 v6, s21, v5
	v_mul_lo_u32 v4, s20, v4
	v_mad_co_u64_u32 v[1:2], null, s20, v5, v[1:2]
	s_delay_alu instid0(VALU_DEP_1)
	v_add3_u32 v2, v6, v2, v4
	s_wait_alu 0xfffe
	s_cbranch_vccnz .LBB0_9
; %bb.7:                                ;   in Loop: Header=BB0_2 Depth=1
	v_dual_mov_b32 v5, v7 :: v_dual_mov_b32 v6, v8
	s_branch .LBB0_2
.LBB0_8:
	v_dual_mov_b32 v8, v6 :: v_dual_mov_b32 v7, v5
.LBB0_9:
	s_lshl_b64 s[2:3], s[6:7], 3
	v_mul_hi_u32 v5, 0x1818182, v0
	s_wait_alu 0xfffe
	s_add_nc_u64 s[2:3], s[10:11], s[2:3]
	s_load_b64 s[2:3], s[2:3], 0x0
	s_load_b64 s[0:1], s[0:1], 0x20
	s_wait_kmcnt 0x0
	v_mul_lo_u32 v3, s2, v8
	v_mul_lo_u32 v4, s3, v7
	v_mad_co_u64_u32 v[1:2], null, s2, v7, v[1:2]
	v_cmp_gt_u64_e32 vcc_lo, s[0:1], v[7:8]
	s_delay_alu instid0(VALU_DEP_2) | instskip(SKIP_1) | instid1(VALU_DEP_2)
	v_add3_u32 v2, v4, v2, v3
	v_mul_u32_u24_e32 v3, 0xaa, v5
	v_lshlrev_b64_e32 v[1:2], 4, v[1:2]
	s_delay_alu instid0(VALU_DEP_2)
	v_sub_nc_u32_e32 v88, v0, v3
	scratch_store_b64 off, v[1:2], off      ; 8-byte Folded Spill
	s_and_saveexec_b32 s1, vcc_lo
	s_cbranch_execz .LBB0_13
; %bb.10:
	scratch_load_b64 v[0:1], off, off       ; 8-byte Folded Reload
	v_mov_b32_e32 v89, 0
	v_lshl_add_u32 v50, v88, 4, 0
	s_mov_b32 s2, exec_lo
	s_delay_alu instid0(VALU_DEP_2) | instskip(SKIP_4) | instid1(VALU_DEP_2)
	v_lshlrev_b64_e32 v[2:3], 4, v[88:89]
	s_wait_loadcnt 0x0
	v_add_co_u32 v0, s0, s8, v0
	s_wait_alu 0xf1ff
	v_add_co_ci_u32_e64 v1, s0, s9, v1, s0
	v_add_co_u32 v46, s0, v0, v2
	s_wait_alu 0xf1ff
	s_delay_alu instid0(VALU_DEP_2)
	v_add_co_ci_u32_e64 v47, s0, v1, v3, s0
	s_clause 0xb
	global_load_b128 v[2:5], v[46:47], off
	global_load_b128 v[6:9], v[46:47], off offset:2720
	global_load_b128 v[10:13], v[46:47], off offset:5440
	global_load_b128 v[14:17], v[46:47], off offset:8160
	global_load_b128 v[18:21], v[46:47], off offset:10880
	global_load_b128 v[22:25], v[46:47], off offset:13600
	global_load_b128 v[26:29], v[46:47], off offset:16320
	global_load_b128 v[30:33], v[46:47], off offset:19040
	global_load_b128 v[34:37], v[46:47], off offset:21760
	global_load_b128 v[38:41], v[46:47], off offset:24480
	global_load_b128 v[42:45], v[46:47], off offset:27200
	global_load_b128 v[46:49], v[46:47], off offset:29920
	s_wait_loadcnt 0xb
	ds_store_b128 v50, v[2:5]
	s_wait_loadcnt 0xa
	ds_store_b128 v50, v[6:9] offset:2720
	s_wait_loadcnt 0x9
	ds_store_b128 v50, v[10:13] offset:5440
	;; [unrolled: 2-line block ×11, first 2 shown]
	v_cmpx_eq_u32_e32 0xa9, v88
	s_cbranch_execz .LBB0_12
; %bb.11:
	global_load_b128 v[0:3], v[0:1], off offset:32640
	v_mov_b32_e32 v88, 0xa9
	s_wait_loadcnt 0x0
	ds_store_b128 v89, v[0:3] offset:32640
.LBB0_12:
	s_wait_alu 0xfffe
	s_or_b32 exec_lo, exec_lo, s2
.LBB0_13:
	s_wait_alu 0xfffe
	s_or_b32 exec_lo, exec_lo, s1
	v_lshlrev_b32_e32 v0, 4, v88
	global_wb scope:SCOPE_SE
	s_wait_storecnt_dscnt 0x0
	s_barrier_signal -1
	s_barrier_wait -1
	global_inv scope:SCOPE_SE
	v_add_nc_u32_e32 v91, 0, v0
	v_sub_nc_u32_e32 v10, 0, v0
	s_mov_b32 s1, exec_lo
                                        ; implicit-def: $vgpr4_vgpr5
	ds_load_b64 v[6:7], v91
	ds_load_b64 v[8:9], v10 offset:32640
	s_wait_dscnt 0x0
	v_add_f64_e32 v[0:1], v[6:7], v[8:9]
	v_add_f64_e64 v[2:3], v[6:7], -v[8:9]
	v_cmpx_ne_u32_e32 0, v88
	s_wait_alu 0xfffe
	s_xor_b32 s1, exec_lo, s1
	s_cbranch_execz .LBB0_15
; %bb.14:
	v_mov_b32_e32 v89, 0
	v_add_f64_e32 v[13:14], v[6:7], v[8:9]
	v_add_f64_e64 v[15:16], v[6:7], -v[8:9]
	s_delay_alu instid0(VALU_DEP_3) | instskip(NEXT) | instid1(VALU_DEP_1)
	v_lshlrev_b64_e32 v[0:1], 4, v[88:89]
	v_add_co_u32 v0, s0, s4, v0
	s_wait_alu 0xf1ff
	s_delay_alu instid0(VALU_DEP_2)
	v_add_co_ci_u32_e64 v1, s0, s5, v1, s0
	global_load_b128 v[2:5], v[0:1], off offset:32368
	ds_load_b64 v[0:1], v10 offset:32648
	ds_load_b64 v[11:12], v91 offset:8
	s_wait_dscnt 0x0
	v_add_f64_e32 v[6:7], v[0:1], v[11:12]
	v_add_f64_e64 v[0:1], v[11:12], -v[0:1]
	s_wait_loadcnt 0x0
	v_fma_f64 v[8:9], v[15:16], v[4:5], v[13:14]
	v_fma_f64 v[11:12], -v[15:16], v[4:5], v[13:14]
	s_delay_alu instid0(VALU_DEP_3) | instskip(SKIP_1) | instid1(VALU_DEP_4)
	v_fma_f64 v[13:14], v[6:7], v[4:5], -v[0:1]
	v_fma_f64 v[4:5], v[6:7], v[4:5], v[0:1]
	v_fma_f64 v[0:1], -v[6:7], v[2:3], v[8:9]
	s_delay_alu instid0(VALU_DEP_4) | instskip(NEXT) | instid1(VALU_DEP_4)
	v_fma_f64 v[6:7], v[6:7], v[2:3], v[11:12]
	v_fma_f64 v[8:9], v[15:16], v[2:3], v[13:14]
	s_delay_alu instid0(VALU_DEP_4)
	v_fma_f64 v[2:3], v[15:16], v[2:3], v[4:5]
	v_dual_mov_b32 v4, v88 :: v_dual_mov_b32 v5, v89
	ds_store_b128 v10, v[6:9] offset:32640
.LBB0_15:
	s_wait_alu 0xfffe
	s_and_not1_saveexec_b32 s0, s1
	s_cbranch_execz .LBB0_17
; %bb.16:
	v_mov_b32_e32 v8, 0
	ds_load_b128 v[4:7], v8 offset:16320
	s_wait_dscnt 0x0
	v_add_f64_e32 v[11:12], v[4:5], v[4:5]
	v_mul_f64_e32 v[13:14], -2.0, v[6:7]
	v_mov_b32_e32 v4, 0
	v_mov_b32_e32 v5, 0
	ds_store_b128 v8, v[11:14] offset:16320
.LBB0_17:
	s_wait_alu 0xfffe
	s_or_b32 exec_lo, exec_lo, s0
	v_lshlrev_b64_e32 v[4:5], 4, v[4:5]
	s_add_nc_u64 s[0:1], s[4:5], 0x7e70
	s_mov_b32 s6, 0x5d8e7cdc
	s_mov_b32 s22, 0x2a9d6da3
	s_mov_b32 s7, 0xbfd71e95
	s_mov_b32 s23, 0xbfe58eea
	s_wait_alu 0xfffe
	v_add_co_u32 v23, s0, s0, v4
	s_wait_alu 0xf1ff
	v_add_co_ci_u32_e64 v24, s0, s1, v5, s0
	s_mov_b32 s2, 0x370991
	s_mov_b32 s3, 0x3fedd6d0
	;; [unrolled: 1-line block ×3, first 2 shown]
	s_clause 0x1
	global_load_b128 v[4:7], v[23:24], off offset:2720
	global_load_b128 v[11:14], v[23:24], off offset:5440
	ds_store_b128 v91, v[0:3]
	ds_load_b128 v[0:3], v91 offset:2720
	ds_load_b128 v[15:18], v10 offset:29920
	global_load_b128 v[19:22], v[23:24], off offset:8160
	s_mov_b32 s11, 0x3fe7a5f6
	s_mov_b32 s16, 0x7c9e640b
	;; [unrolled: 1-line block ×18, first 2 shown]
	s_wait_dscnt 0x0
	v_add_f64_e32 v[8:9], v[0:1], v[15:16]
	v_add_f64_e32 v[25:26], v[17:18], v[2:3]
	v_add_f64_e64 v[15:16], v[0:1], -v[15:16]
	v_add_f64_e64 v[0:1], v[2:3], -v[17:18]
	s_mov_b32 s35, 0x3fe0d888
	s_mov_b32 s39, 0xbfe0d888
	s_mov_b32 s38, s34
	s_mov_b32 s28, 0x910ea3b9
	s_mov_b32 s29, 0xbfeb34fa
	s_mov_b32 s36, 0xacd6c6b4
	s_mov_b32 s37, 0xbfc7851a
	s_mov_b32 s30, 0x7faef3
	s_mov_b32 s31, 0xbfef7484
	s_mov_b32 s49, 0x3feec746
	s_wait_alu 0xfffe
	s_mov_b32 s48, s24
	s_mov_b32 s45, 0x3feca52d
	;; [unrolled: 1-line block ×13, first 2 shown]
	s_mov_b32 s1, exec_lo
	s_wait_loadcnt 0x2
	s_delay_alu instid0(VALU_DEP_2) | instskip(NEXT) | instid1(VALU_DEP_2)
	v_fma_f64 v[2:3], v[15:16], v[6:7], v[8:9]
	v_fma_f64 v[17:18], v[25:26], v[6:7], v[0:1]
	v_fma_f64 v[8:9], -v[15:16], v[6:7], v[8:9]
	v_fma_f64 v[27:28], v[25:26], v[6:7], -v[0:1]
	s_delay_alu instid0(VALU_DEP_4) | instskip(NEXT) | instid1(VALU_DEP_4)
	v_fma_f64 v[0:1], -v[25:26], v[4:5], v[2:3]
	v_fma_f64 v[2:3], v[15:16], v[4:5], v[17:18]
	s_delay_alu instid0(VALU_DEP_4) | instskip(NEXT) | instid1(VALU_DEP_4)
	v_fma_f64 v[6:7], v[25:26], v[4:5], v[8:9]
	v_fma_f64 v[8:9], v[15:16], v[4:5], v[27:28]
	ds_store_b128 v91, v[0:3] offset:2720
	ds_store_b128 v10, v[6:9] offset:29920
	ds_load_b128 v[0:3], v91 offset:5440
	ds_load_b128 v[4:7], v10 offset:27200
	global_load_b128 v[15:18], v[23:24], off offset:10880
	s_wait_dscnt 0x0
	v_add_f64_e32 v[8:9], v[0:1], v[4:5]
	v_add_f64_e32 v[25:26], v[6:7], v[2:3]
	v_add_f64_e64 v[27:28], v[0:1], -v[4:5]
	v_add_f64_e64 v[0:1], v[2:3], -v[6:7]
	s_wait_loadcnt 0x2
	s_delay_alu instid0(VALU_DEP_2) | instskip(NEXT) | instid1(VALU_DEP_2)
	v_fma_f64 v[2:3], v[27:28], v[13:14], v[8:9]
	v_fma_f64 v[4:5], v[25:26], v[13:14], v[0:1]
	v_fma_f64 v[6:7], -v[27:28], v[13:14], v[8:9]
	v_fma_f64 v[8:9], v[25:26], v[13:14], -v[0:1]
	s_delay_alu instid0(VALU_DEP_4) | instskip(NEXT) | instid1(VALU_DEP_4)
	v_fma_f64 v[0:1], -v[25:26], v[11:12], v[2:3]
	v_fma_f64 v[2:3], v[27:28], v[11:12], v[4:5]
	s_delay_alu instid0(VALU_DEP_4) | instskip(NEXT) | instid1(VALU_DEP_4)
	v_fma_f64 v[4:5], v[25:26], v[11:12], v[6:7]
	v_fma_f64 v[6:7], v[27:28], v[11:12], v[8:9]
	ds_store_b128 v91, v[0:3] offset:5440
	ds_store_b128 v10, v[4:7] offset:27200
	ds_load_b128 v[0:3], v91 offset:8160
	ds_load_b128 v[4:7], v10 offset:24480
	global_load_b128 v[11:14], v[23:24], off offset:13600
	s_wait_dscnt 0x0
	v_add_f64_e32 v[8:9], v[0:1], v[4:5]
	v_add_f64_e32 v[23:24], v[6:7], v[2:3]
	v_add_f64_e64 v[25:26], v[0:1], -v[4:5]
	v_add_f64_e64 v[0:1], v[2:3], -v[6:7]
	s_wait_loadcnt 0x2
	s_delay_alu instid0(VALU_DEP_2) | instskip(NEXT) | instid1(VALU_DEP_2)
	v_fma_f64 v[2:3], v[25:26], v[21:22], v[8:9]
	v_fma_f64 v[4:5], v[23:24], v[21:22], v[0:1]
	v_fma_f64 v[6:7], -v[25:26], v[21:22], v[8:9]
	v_fma_f64 v[8:9], v[23:24], v[21:22], -v[0:1]
	s_delay_alu instid0(VALU_DEP_4) | instskip(NEXT) | instid1(VALU_DEP_4)
	v_fma_f64 v[0:1], -v[23:24], v[19:20], v[2:3]
	v_fma_f64 v[2:3], v[25:26], v[19:20], v[4:5]
	s_delay_alu instid0(VALU_DEP_4) | instskip(NEXT) | instid1(VALU_DEP_4)
	v_fma_f64 v[4:5], v[23:24], v[19:20], v[6:7]
	v_fma_f64 v[6:7], v[25:26], v[19:20], v[8:9]
	ds_store_b128 v91, v[0:3] offset:8160
	ds_store_b128 v10, v[4:7] offset:24480
	ds_load_b128 v[0:3], v91 offset:10880
	ds_load_b128 v[4:7], v10 offset:21760
	s_wait_dscnt 0x0
	v_add_f64_e32 v[8:9], v[0:1], v[4:5]
	v_add_f64_e32 v[19:20], v[6:7], v[2:3]
	v_add_f64_e64 v[21:22], v[0:1], -v[4:5]
	v_add_f64_e64 v[0:1], v[2:3], -v[6:7]
	s_wait_loadcnt 0x1
	s_delay_alu instid0(VALU_DEP_2) | instskip(NEXT) | instid1(VALU_DEP_2)
	v_fma_f64 v[2:3], v[21:22], v[17:18], v[8:9]
	v_fma_f64 v[4:5], v[19:20], v[17:18], v[0:1]
	v_fma_f64 v[6:7], -v[21:22], v[17:18], v[8:9]
	v_fma_f64 v[8:9], v[19:20], v[17:18], -v[0:1]
	s_delay_alu instid0(VALU_DEP_4) | instskip(NEXT) | instid1(VALU_DEP_4)
	v_fma_f64 v[0:1], -v[19:20], v[15:16], v[2:3]
	v_fma_f64 v[2:3], v[21:22], v[15:16], v[4:5]
	s_delay_alu instid0(VALU_DEP_4) | instskip(NEXT) | instid1(VALU_DEP_4)
	v_fma_f64 v[4:5], v[19:20], v[15:16], v[6:7]
	v_fma_f64 v[6:7], v[21:22], v[15:16], v[8:9]
	ds_store_b128 v91, v[0:3] offset:10880
	ds_store_b128 v10, v[4:7] offset:21760
	ds_load_b128 v[0:3], v91 offset:13600
	ds_load_b128 v[4:7], v10 offset:19040
	s_wait_dscnt 0x0
	v_add_f64_e32 v[8:9], v[0:1], v[4:5]
	v_add_f64_e32 v[15:16], v[6:7], v[2:3]
	v_add_f64_e64 v[17:18], v[0:1], -v[4:5]
	v_add_f64_e64 v[0:1], v[2:3], -v[6:7]
	s_wait_loadcnt 0x0
	s_delay_alu instid0(VALU_DEP_2) | instskip(NEXT) | instid1(VALU_DEP_2)
	v_fma_f64 v[2:3], v[17:18], v[13:14], v[8:9]
	v_fma_f64 v[4:5], v[15:16], v[13:14], v[0:1]
	v_fma_f64 v[6:7], -v[17:18], v[13:14], v[8:9]
	v_fma_f64 v[8:9], v[15:16], v[13:14], -v[0:1]
	s_delay_alu instid0(VALU_DEP_4) | instskip(NEXT) | instid1(VALU_DEP_4)
	v_fma_f64 v[0:1], -v[15:16], v[11:12], v[2:3]
	v_fma_f64 v[2:3], v[17:18], v[11:12], v[4:5]
	s_delay_alu instid0(VALU_DEP_4) | instskip(NEXT) | instid1(VALU_DEP_4)
	v_fma_f64 v[4:5], v[15:16], v[11:12], v[6:7]
	v_fma_f64 v[6:7], v[17:18], v[11:12], v[8:9]
	ds_store_b128 v91, v[0:3] offset:13600
	ds_store_b128 v10, v[4:7] offset:19040
	global_wb scope:SCOPE_SE
	s_wait_dscnt 0x0
	s_barrier_signal -1
	s_barrier_wait -1
	global_inv scope:SCOPE_SE
	global_wb scope:SCOPE_SE
	s_barrier_signal -1
	s_barrier_wait -1
	global_inv scope:SCOPE_SE
	ds_load_b128 v[20:23], v91 offset:30720
	ds_load_b128 v[36:39], v91 offset:1920
	ds_load_b128 v[24:27], v91
	ds_load_b128 v[28:31], v91 offset:28800
	ds_load_b128 v[40:43], v91 offset:3840
	;; [unrolled: 1-line block ×4, first 2 shown]
	s_wait_dscnt 0x5
	v_add_f64_e64 v[180:181], v[38:39], -v[22:23]
	v_add_f64_e32 v[176:177], v[36:37], v[20:21]
	s_wait_dscnt 0x2
	v_add_f64_e64 v[126:127], v[42:43], -v[30:31]
	v_add_f64_e64 v[112:113], v[40:41], -v[28:29]
	v_add_f64_e32 v[92:93], v[40:41], v[28:29]
	v_add_f64_e64 v[186:187], v[36:37], -v[20:21]
	v_add_f64_e32 v[182:183], v[38:39], v[22:23]
	v_add_f64_e32 v[96:97], v[42:43], v[30:31]
	s_wait_dscnt 0x0
	v_add_f64_e64 v[132:133], v[50:51], -v[34:35]
	v_add_f64_e32 v[100:101], v[48:49], v[32:33]
	v_add_f64_e64 v[114:115], v[48:49], -v[32:33]
	v_add_f64_e32 v[104:105], v[50:51], v[34:35]
	v_mul_f64_e32 v[0:1], s[6:7], v[180:181]
	v_mul_f64_e32 v[198:199], s[22:23], v[180:181]
	;; [unrolled: 1-line block ×23, first 2 shown]
	s_clause 0x2
	scratch_store_b64 off, v[2:3], off offset:8
	scratch_store_b64 off, v[4:5], off offset:16
	;; [unrolled: 1-line block ×3, first 2 shown]
	v_fma_f64 v[0:1], v[176:177], s[2:3], v[0:1]
	v_fma_f64 v[2:3], v[92:93], s[10:11], v[2:3]
	v_fma_f64 v[4:5], v[96:97], s[10:11], -v[4:5]
	v_fma_f64 v[16:17], v[96:97], s[30:31], -v[232:233]
	;; [unrolled: 1-line block ×3, first 2 shown]
	v_add_f64_e32 v[0:1], v[24:25], v[0:1]
	s_delay_alu instid0(VALU_DEP_1) | instskip(SKIP_3) | instid1(VALU_DEP_1)
	v_add_f64_e32 v[0:1], v[2:3], v[0:1]
	v_mul_f64_e32 v[2:3], s[6:7], v[186:187]
	scratch_store_b64 off, v[2:3], off offset:128 ; 8-byte Folded Spill
	v_fma_f64 v[2:3], v[182:183], s[2:3], -v[2:3]
	v_add_f64_e32 v[2:3], v[26:27], v[2:3]
	s_delay_alu instid0(VALU_DEP_1) | instskip(SKIP_3) | instid1(VALU_DEP_1)
	v_add_f64_e32 v[2:3], v[4:5], v[2:3]
	v_mul_f64_e32 v[4:5], s[16:17], v[132:133]
	scratch_store_b64 off, v[4:5], off offset:24 ; 8-byte Folded Spill
	v_fma_f64 v[4:5], v[100:101], s[12:13], v[4:5]
	v_add_f64_e32 v[0:1], v[4:5], v[0:1]
	v_mul_f64_e32 v[4:5], s[16:17], v[114:115]
	scratch_store_b64 off, v[4:5], off offset:32 ; 8-byte Folded Spill
	ds_load_b128 v[44:47], v91 offset:24960
	ds_load_b128 v[56:59], v91 offset:7680
	;; [unrolled: 1-line block ×4, first 2 shown]
	v_fma_f64 v[4:5], v[104:105], s[12:13], -v[4:5]
	s_wait_dscnt 0x2
	v_add_f64_e64 v[136:137], v[58:59], -v[46:47]
	v_add_f64_e32 v[108:109], v[56:57], v[44:45]
	v_add_f64_e64 v[124:125], v[56:57], -v[44:45]
	v_add_f64_e32 v[116:117], v[58:59], v[46:47]
	s_wait_dscnt 0x0
	v_add_f64_e64 v[142:143], v[62:63], -v[54:55]
	v_add_f64_e32 v[120:121], v[60:61], v[52:53]
	v_add_f64_e64 v[134:135], v[60:61], -v[52:53]
	v_add_f64_e32 v[128:129], v[62:63], v[54:55]
	v_add_f64_e32 v[2:3], v[4:5], v[2:3]
	v_mul_f64_e32 v[4:5], s[20:21], v[136:137]
	v_mul_f64_e32 v[224:225], s[40:41], v[136:137]
	v_mul_f64_e32 v[246:247], s[48:49], v[124:125]
	v_mul_f64_e32 v[110:111], s[40:41], v[124:125]
	v_mul_f64_e32 v[240:241], s[46:47], v[142:143]
	v_mul_f64_e32 v[98:99], s[16:17], v[142:143]
	v_mul_f64_e32 v[234:235], s[34:35], v[134:135]
	v_mul_f64_e32 v[140:141], s[46:47], v[134:135]
	v_mul_f64_e32 v[160:161], s[16:17], v[134:135]
	v_mul_f64_e32 v[242:243], s[16:17], v[136:137]
	v_mul_f64_e32 v[178:179], s[16:17], v[124:125]
	v_mul_f64_e32 v[154:155], s[36:37], v[142:143]
	v_mul_f64_e32 v[194:195], s[36:37], v[134:135]
	scratch_store_b64 off, v[4:5], off offset:40 ; 8-byte Folded Spill
	v_fma_f64 v[4:5], v[108:109], s[14:15], v[4:5]
	s_delay_alu instid0(VALU_DEP_1) | instskip(SKIP_3) | instid1(VALU_DEP_1)
	v_add_f64_e32 v[0:1], v[4:5], v[0:1]
	v_mul_f64_e32 v[4:5], s[20:21], v[124:125]
	scratch_store_b64 off, v[4:5], off offset:48 ; 8-byte Folded Spill
	v_fma_f64 v[4:5], v[116:117], s[14:15], -v[4:5]
	v_add_f64_e32 v[2:3], v[4:5], v[2:3]
	v_mul_f64_e32 v[4:5], s[24:25], v[142:143]
	scratch_store_b64 off, v[4:5], off offset:56 ; 8-byte Folded Spill
	v_fma_f64 v[4:5], v[120:121], s[18:19], v[4:5]
	s_delay_alu instid0(VALU_DEP_1)
	v_add_f64_e32 v[0:1], v[4:5], v[0:1]
	v_mul_f64_e32 v[4:5], s[24:25], v[134:135]
	scratch_store_b64 off, v[4:5], off offset:64 ; 8-byte Folded Spill
	ds_load_b128 v[64:67], v91 offset:21120
	ds_load_b128 v[68:71], v91 offset:11520
	;; [unrolled: 1-line block ×4, first 2 shown]
	v_fma_f64 v[4:5], v[128:129], s[18:19], -v[4:5]
	s_wait_dscnt 0x2
	v_add_f64_e64 v[168:169], v[70:71], -v[66:67]
	v_add_f64_e32 v[138:139], v[68:69], v[64:65]
	v_add_f64_e64 v[156:157], v[68:69], -v[64:65]
	v_add_f64_e32 v[144:145], v[70:71], v[66:67]
	s_wait_dscnt 0x0
	v_add_f64_e64 v[170:171], v[78:79], -v[74:75]
	v_add_f64_e32 v[148:149], v[76:77], v[72:73]
	v_add_f64_e64 v[166:167], v[76:77], -v[72:73]
	v_add_f64_e32 v[152:153], v[78:79], v[74:75]
	v_add_f64_e32 v[2:3], v[4:5], v[2:3]
	v_mul_f64_e32 v[4:5], s[50:51], v[168:169]
	v_mul_f64_e32 v[226:227], s[48:49], v[168:169]
	;; [unrolled: 1-line block ×16, first 2 shown]
	scratch_store_b64 off, v[4:5], off offset:72 ; 8-byte Folded Spill
	v_fma_f64 v[4:5], v[138:139], s[26:27], v[4:5]
	s_delay_alu instid0(VALU_DEP_1) | instskip(SKIP_3) | instid1(VALU_DEP_1)
	v_add_f64_e32 v[0:1], v[4:5], v[0:1]
	v_mul_f64_e32 v[4:5], s[50:51], v[156:157]
	scratch_store_b64 off, v[4:5], off offset:80 ; 8-byte Folded Spill
	v_fma_f64 v[4:5], v[144:145], s[26:27], -v[4:5]
	v_add_f64_e32 v[2:3], v[4:5], v[2:3]
	v_mul_f64_e32 v[4:5], s[38:39], v[170:171]
	scratch_store_b64 off, v[4:5], off offset:88 ; 8-byte Folded Spill
	v_fma_f64 v[4:5], v[148:149], s[28:29], v[4:5]
	s_delay_alu instid0(VALU_DEP_1)
	v_add_f64_e32 v[0:1], v[4:5], v[0:1]
	v_mul_f64_e32 v[4:5], s[38:39], v[166:167]
	scratch_store_b64 off, v[4:5], off offset:96 ; 8-byte Folded Spill
	ds_load_b128 v[84:87], v91 offset:15360
	ds_load_b128 v[80:83], v91 offset:17280
	v_fma_f64 v[4:5], v[152:153], s[28:29], -v[4:5]
	s_clause 0x1
	scratch_store_b64 off, v[6:7], off offset:136
	scratch_store_b64 off, v[14:15], off offset:216
	v_fma_f64 v[6:7], v[92:93], s[14:15], v[6:7]
	scratch_store_b64 off, v[8:9], off offset:160 ; 8-byte Folded Spill
	v_fma_f64 v[8:9], v[96:97], s[14:15], -v[8:9]
	scratch_store_b64 off, v[12:13], off offset:232 ; 8-byte Folded Spill
	v_fma_f64 v[12:13], v[96:97], s[26:27], -v[12:13]
	v_fma_f64 v[14:15], v[92:93], s[30:31], v[14:15]
	s_wait_dscnt 0x0
	v_add_f64_e64 v[174:175], v[86:87], -v[82:83]
	v_add_f64_e32 v[158:159], v[84:85], v[80:81]
	v_add_f64_e64 v[172:173], v[84:85], -v[80:81]
	v_add_f64_e32 v[162:163], v[86:87], v[82:83]
	v_add_f64_e32 v[2:3], v[4:5], v[2:3]
	v_mul_f64_e32 v[4:5], s[36:37], v[174:175]
	v_mul_f64_e32 v[228:229], s[38:39], v[174:175]
	;; [unrolled: 1-line block ×6, first 2 shown]
	scratch_store_b64 off, v[4:5], off offset:104 ; 8-byte Folded Spill
	v_fma_f64 v[4:5], v[158:159], s[30:31], v[4:5]
	s_delay_alu instid0(VALU_DEP_1) | instskip(SKIP_3) | instid1(VALU_DEP_1)
	v_add_f64_e32 v[0:1], v[4:5], v[0:1]
	v_mul_f64_e32 v[4:5], s[36:37], v[172:173]
	scratch_store_b64 off, v[4:5], off offset:112 ; 8-byte Folded Spill
	v_fma_f64 v[4:5], v[162:163], s[30:31], -v[4:5]
	v_add_f64_e32 v[2:3], v[4:5], v[2:3]
	v_fma_f64 v[4:5], v[176:177], s[10:11], v[198:199]
	s_delay_alu instid0(VALU_DEP_1) | instskip(NEXT) | instid1(VALU_DEP_1)
	v_add_f64_e32 v[4:5], v[24:25], v[4:5]
	v_add_f64_e32 v[4:5], v[6:7], v[4:5]
	v_fma_f64 v[6:7], v[182:183], s[10:11], -v[200:201]
	s_delay_alu instid0(VALU_DEP_1) | instskip(NEXT) | instid1(VALU_DEP_1)
	v_add_f64_e32 v[6:7], v[26:27], v[6:7]
	v_add_f64_e32 v[6:7], v[8:9], v[6:7]
	v_mul_f64_e32 v[8:9], s[50:51], v[132:133]
	scratch_store_b64 off, v[8:9], off offset:144 ; 8-byte Folded Spill
	v_fma_f64 v[8:9], v[100:101], s[26:27], v[8:9]
	s_delay_alu instid0(VALU_DEP_1) | instskip(SKIP_3) | instid1(VALU_DEP_1)
	v_add_f64_e32 v[4:5], v[8:9], v[4:5]
	v_mul_f64_e32 v[8:9], s[50:51], v[114:115]
	scratch_store_b64 off, v[8:9], off offset:176 ; 8-byte Folded Spill
	v_fma_f64 v[8:9], v[104:105], s[26:27], -v[8:9]
	v_add_f64_e32 v[6:7], v[8:9], v[6:7]
	v_mul_f64_e32 v[8:9], s[36:37], v[136:137]
	scratch_store_b64 off, v[8:9], off offset:152 ; 8-byte Folded Spill
	v_fma_f64 v[8:9], v[108:109], s[30:31], v[8:9]
	s_delay_alu instid0(VALU_DEP_1) | instskip(SKIP_3) | instid1(VALU_DEP_1)
	v_add_f64_e32 v[4:5], v[8:9], v[4:5]
	v_mul_f64_e32 v[8:9], s[36:37], v[124:125]
	scratch_store_b64 off, v[8:9], off offset:240 ; 8-byte Folded Spill
	v_fma_f64 v[8:9], v[116:117], s[30:31], -v[8:9]
	v_add_f64_e32 v[6:7], v[8:9], v[6:7]
	v_mul_f64_e32 v[8:9], s[34:35], v[142:143]
	scratch_store_b64 off, v[8:9], off offset:192 ; 8-byte Folded Spill
	v_fma_f64 v[8:9], v[120:121], s[28:29], v[8:9]
	s_delay_alu instid0(VALU_DEP_1) | instskip(SKIP_1) | instid1(VALU_DEP_1)
	v_add_f64_e32 v[4:5], v[8:9], v[4:5]
	v_fma_f64 v[8:9], v[128:129], s[28:29], -v[234:235]
	v_add_f64_e32 v[6:7], v[8:9], v[6:7]
	v_fma_f64 v[8:9], v[138:139], s[18:19], v[226:227]
	s_delay_alu instid0(VALU_DEP_1) | instskip(SKIP_1) | instid1(VALU_DEP_1)
	v_add_f64_e32 v[4:5], v[8:9], v[4:5]
	v_fma_f64 v[8:9], v[144:145], s[18:19], -v[94:95]
	v_add_f64_e32 v[6:7], v[8:9], v[6:7]
	v_mul_f64_e32 v[8:9], s[44:45], v[170:171]
	scratch_store_b64 off, v[8:9], off offset:200 ; 8-byte Folded Spill
	v_fma_f64 v[8:9], v[148:149], s[12:13], v[8:9]
	s_delay_alu instid0(VALU_DEP_1) | instskip(SKIP_1) | instid1(VALU_DEP_1)
	v_add_f64_e32 v[4:5], v[8:9], v[4:5]
	v_fma_f64 v[8:9], v[152:153], s[12:13], -v[216:217]
	v_add_f64_e32 v[6:7], v[8:9], v[6:7]
	v_mul_f64_e32 v[8:9], s[40:41], v[174:175]
	scratch_store_b64 off, v[8:9], off offset:208 ; 8-byte Folded Spill
	v_fma_f64 v[8:9], v[158:159], s[2:3], v[8:9]
	s_delay_alu instid0(VALU_DEP_1) | instskip(SKIP_1) | instid1(VALU_DEP_1)
	v_add_f64_e32 v[8:9], v[8:9], v[4:5]
	v_fma_f64 v[4:5], v[162:163], s[2:3], -v[220:221]
	v_add_f64_e32 v[10:11], v[4:5], v[6:7]
	v_fma_f64 v[4:5], v[176:177], s[12:13], v[202:203]
	v_mul_f64_e32 v[6:7], s[50:51], v[126:127]
	s_delay_alu instid0(VALU_DEP_2) | instskip(SKIP_2) | instid1(VALU_DEP_1)
	v_add_f64_e32 v[4:5], v[24:25], v[4:5]
	scratch_store_b64 off, v[6:7], off offset:168 ; 8-byte Folded Spill
	v_fma_f64 v[6:7], v[92:93], s[26:27], v[6:7]
	v_add_f64_e32 v[4:5], v[6:7], v[4:5]
	v_fma_f64 v[6:7], v[182:183], s[12:13], -v[204:205]
	s_delay_alu instid0(VALU_DEP_1) | instskip(NEXT) | instid1(VALU_DEP_1)
	v_add_f64_e32 v[6:7], v[26:27], v[6:7]
	v_add_f64_e32 v[6:7], v[12:13], v[6:7]
	v_mul_f64_e32 v[12:13], s[42:43], v[132:133]
	scratch_store_b64 off, v[12:13], off offset:184 ; 8-byte Folded Spill
	v_fma_f64 v[12:13], v[100:101], s[30:31], v[12:13]
	s_delay_alu instid0(VALU_DEP_1) | instskip(SKIP_1) | instid1(VALU_DEP_1)
	v_add_f64_e32 v[4:5], v[12:13], v[4:5]
	v_fma_f64 v[12:13], v[104:105], s[30:31], -v[230:231]
	v_add_f64_e32 v[6:7], v[12:13], v[6:7]
	v_mul_f64_e32 v[12:13], s[48:49], v[136:137]
	scratch_store_b64 off, v[12:13], off offset:224 ; 8-byte Folded Spill
	v_fma_f64 v[12:13], v[108:109], s[18:19], v[12:13]
	global_wb scope:SCOPE_SE
	s_wait_storecnt 0x0
	s_barrier_signal -1
	s_barrier_wait -1
	global_inv scope:SCOPE_SE
	v_add_f64_e32 v[4:5], v[12:13], v[4:5]
	v_fma_f64 v[12:13], v[116:117], s[18:19], -v[246:247]
	s_delay_alu instid0(VALU_DEP_1) | instskip(SKIP_1) | instid1(VALU_DEP_1)
	v_add_f64_e32 v[6:7], v[12:13], v[6:7]
	v_fma_f64 v[12:13], v[120:121], s[10:11], v[240:241]
	v_add_f64_e32 v[4:5], v[12:13], v[4:5]
	v_fma_f64 v[12:13], v[128:129], s[10:11], -v[140:141]
	s_delay_alu instid0(VALU_DEP_1) | instskip(SKIP_1) | instid1(VALU_DEP_1)
	v_add_f64_e32 v[6:7], v[12:13], v[6:7]
	v_fma_f64 v[12:13], v[138:139], s[2:3], v[102:103]
	;; [unrolled: 5-line block ×5, first 2 shown]
	v_add_f64_e32 v[12:13], v[24:25], v[12:13]
	s_delay_alu instid0(VALU_DEP_1) | instskip(SKIP_1) | instid1(VALU_DEP_1)
	v_add_f64_e32 v[12:13], v[14:15], v[12:13]
	v_fma_f64 v[14:15], v[182:183], s[14:15], -v[208:209]
	v_add_f64_e32 v[14:15], v[26:27], v[14:15]
	s_delay_alu instid0(VALU_DEP_1) | instskip(SKIP_1) | instid1(VALU_DEP_1)
	v_add_f64_e32 v[14:15], v[16:17], v[14:15]
	v_fma_f64 v[16:17], v[100:101], s[18:19], v[218:219]
	v_add_f64_e32 v[12:13], v[16:17], v[12:13]
	v_fma_f64 v[16:17], v[104:105], s[18:19], -v[252:253]
	s_delay_alu instid0(VALU_DEP_1) | instskip(SKIP_1) | instid1(VALU_DEP_1)
	v_add_f64_e32 v[14:15], v[16:17], v[14:15]
	v_fma_f64 v[16:17], v[108:109], s[2:3], v[224:225]
	v_add_f64_e32 v[12:13], v[16:17], v[12:13]
	v_fma_f64 v[16:17], v[116:117], s[2:3], -v[110:111]
	;; [unrolled: 5-line block ×6, first 2 shown]
	s_delay_alu instid0(VALU_DEP_1) | instskip(SKIP_2) | instid1(VALU_DEP_2)
	v_add_f64_e32 v[18:19], v[12:13], v[14:15]
	v_fma_f64 v[12:13], v[176:177], s[18:19], v[210:211]
	v_fma_f64 v[14:15], v[92:93], s[28:29], v[222:223]
	v_add_f64_e32 v[12:13], v[24:25], v[12:13]
	s_delay_alu instid0(VALU_DEP_1) | instskip(SKIP_1) | instid1(VALU_DEP_1)
	v_add_f64_e32 v[12:13], v[14:15], v[12:13]
	v_fma_f64 v[14:15], v[182:183], s[18:19], -v[212:213]
	v_add_f64_e32 v[14:15], v[26:27], v[14:15]
	s_delay_alu instid0(VALU_DEP_1) | instskip(SKIP_1) | instid1(VALU_DEP_1)
	v_add_f64_e32 v[14:15], v[122:123], v[14:15]
	v_fma_f64 v[122:123], v[100:101], s[10:11], v[238:239]
	v_add_f64_e32 v[12:13], v[122:123], v[12:13]
	v_fma_f64 v[122:123], v[104:105], s[10:11], -v[130:131]
	s_delay_alu instid0(VALU_DEP_1) | instskip(SKIP_1) | instid1(VALU_DEP_1)
	v_add_f64_e32 v[14:15], v[122:123], v[14:15]
	v_fma_f64 v[122:123], v[108:109], s[12:13], v[242:243]
	v_add_f64_e32 v[12:13], v[122:123], v[12:13]
	v_fma_f64 v[122:123], v[116:117], s[12:13], -v[178:179]
	s_delay_alu instid0(VALU_DEP_1) | instskip(SKIP_1) | instid1(VALU_DEP_1)
	v_add_f64_e32 v[14:15], v[122:123], v[14:15]
	v_fma_f64 v[122:123], v[120:121], s[30:31], v[154:155]
	v_add_f64_e32 v[12:13], v[122:123], v[12:13]
	v_fma_f64 v[122:123], v[128:129], s[30:31], -v[194:195]
	s_delay_alu instid0(VALU_DEP_1) | instskip(SKIP_1) | instid1(VALU_DEP_1)
	v_add_f64_e32 v[14:15], v[122:123], v[14:15]
	v_fma_f64 v[122:123], v[138:139], s[14:15], v[190:191]
	v_add_f64_e32 v[12:13], v[122:123], v[12:13]
	v_fma_f64 v[122:123], v[144:145], s[14:15], -v[196:197]
	s_delay_alu instid0(VALU_DEP_1) | instskip(SKIP_1) | instid1(VALU_DEP_1)
	v_add_f64_e32 v[14:15], v[122:123], v[14:15]
	v_fma_f64 v[122:123], v[148:149], s[2:3], v[146:147]
	v_add_f64_e32 v[12:13], v[122:123], v[12:13]
	v_fma_f64 v[122:123], v[152:153], s[2:3], -v[188:189]
	s_delay_alu instid0(VALU_DEP_1) | instskip(SKIP_1) | instid1(VALU_DEP_1)
	v_add_f64_e32 v[14:15], v[122:123], v[14:15]
	v_mul_f64_e32 v[122:123], s[50:51], v[174:175]
	v_fma_f64 v[164:165], v[158:159], s[26:27], v[122:123]
	s_delay_alu instid0(VALU_DEP_1) | instskip(SKIP_1) | instid1(VALU_DEP_1)
	v_add_f64_e32 v[12:13], v[164:165], v[12:13]
	v_mul_f64_e32 v[164:165], s[50:51], v[172:173]
	v_fma_f64 v[214:215], v[162:163], s[26:27], -v[164:165]
	s_delay_alu instid0(VALU_DEP_1)
	v_add_f64_e32 v[14:15], v[214:215], v[14:15]
	v_cmpx_gt_u32_e32 0x78, v88
	s_cbranch_execz .LBB0_19
; %bb.18:
	v_add_f64_e32 v[36:37], v[24:25], v[36:37]
	v_add_f64_e32 v[38:39], v[26:27], v[38:39]
	scratch_load_b64 v[214:215], off, off offset:144 th:TH_LOAD_LU ; 8-byte Folded Reload
	v_add_f64_e32 v[36:37], v[36:37], v[40:41]
	v_add_f64_e32 v[38:39], v[38:39], v[42:43]
	v_mul_f64_e32 v[40:41], s[18:19], v[182:183]
	v_mul_f64_e32 v[42:43], s[18:19], v[176:177]
	s_delay_alu instid0(VALU_DEP_4) | instskip(NEXT) | instid1(VALU_DEP_4)
	v_add_f64_e32 v[36:37], v[36:37], v[48:49]
	v_add_f64_e32 v[38:39], v[38:39], v[50:51]
	s_delay_alu instid0(VALU_DEP_4)
	v_add_f64_e32 v[40:41], v[212:213], v[40:41]
	scratch_load_b64 v[212:213], off, off offset:136 th:TH_LOAD_LU ; 8-byte Folded Reload
	v_mul_f64_e32 v[48:49], s[12:13], v[182:183]
	v_mul_f64_e32 v[50:51], s[12:13], v[176:177]
	v_add_f64_e64 v[42:43], v[42:43], -v[210:211]
	scratch_load_b64 v[210:211], off, off offset:192 th:TH_LOAD_LU ; 8-byte Folded Reload
	v_add_f64_e32 v[36:37], v[36:37], v[56:57]
	v_add_f64_e32 v[38:39], v[38:39], v[58:59]
	scratch_load_b64 v[58:59], off, off offset:128 th:TH_LOAD_LU ; 8-byte Folded Reload
	v_mul_f64_e32 v[56:57], s[2:3], v[182:183]
	v_add_f64_e32 v[48:49], v[204:205], v[48:49]
	v_add_f64_e64 v[50:51], v[50:51], -v[202:203]
	v_mul_f64_e32 v[202:203], s[18:19], v[162:163]
	v_mul_f64_e32 v[204:205], s[24:25], v[174:175]
	v_add_f64_e32 v[36:37], v[36:37], v[60:61]
	v_add_f64_e32 v[38:39], v[38:39], v[62:63]
	v_mul_f64_e32 v[60:61], s[38:39], v[180:181]
	v_mul_f64_e32 v[62:63], s[50:51], v[180:181]
	s_delay_alu instid0(VALU_DEP_4) | instskip(NEXT) | instid1(VALU_DEP_4)
	v_add_f64_e32 v[36:37], v[36:37], v[68:69]
	v_add_f64_e32 v[38:39], v[38:39], v[70:71]
	v_mul_f64_e32 v[70:71], s[2:3], v[176:177]
	s_delay_alu instid0(VALU_DEP_4)
	v_fma_f64 v[68:69], v[176:177], s[26:27], v[62:63]
	v_fma_f64 v[62:63], v[176:177], s[26:27], -v[62:63]
	v_add_f64_e32 v[36:37], v[36:37], v[76:77]
	v_add_f64_e32 v[38:39], v[38:39], v[78:79]
	;; [unrolled: 1-line block ×6, first 2 shown]
	v_mul_f64_e32 v[48:49], s[28:29], v[104:105]
	v_add_f64_e32 v[36:37], v[36:37], v[84:85]
	v_add_f64_e32 v[38:39], v[38:39], v[86:87]
	s_delay_alu instid0(VALU_DEP_2) | instskip(NEXT) | instid1(VALU_DEP_2)
	v_add_f64_e32 v[36:37], v[36:37], v[80:81]
	v_add_f64_e32 v[38:39], v[38:39], v[82:83]
	;; [unrolled: 1-line block ×4, first 2 shown]
	v_fma_f64 v[50:51], v[114:115], s[34:35], v[48:49]
	v_add_f64_e32 v[36:37], v[36:37], v[72:73]
	scratch_load_b64 v[72:73], off, off offset:120 th:TH_LOAD_LU ; 8-byte Folded Reload
	v_add_f64_e32 v[38:39], v[38:39], v[74:75]
	v_add_f64_e32 v[36:37], v[36:37], v[64:65]
	s_delay_alu instid0(VALU_DEP_2) | instskip(SKIP_2) | instid1(VALU_DEP_4)
	v_add_f64_e32 v[38:39], v[38:39], v[66:67]
	v_fma_f64 v[66:67], v[176:177], s[28:29], v[60:61]
	v_fma_f64 v[60:61], v[176:177], s[28:29], -v[60:61]
	v_add_f64_e32 v[36:37], v[36:37], v[52:53]
	v_mul_f64_e32 v[52:53], s[10:11], v[182:183]
	v_add_f64_e32 v[38:39], v[38:39], v[54:55]
	v_mul_f64_e32 v[54:55], s[10:11], v[176:177]
	v_add_f64_e32 v[66:67], v[24:25], v[66:67]
	v_add_f64_e32 v[60:61], v[24:25], v[60:61]
	s_wait_loadcnt 0x1
	v_add_f64_e32 v[56:57], v[58:59], v[56:57]
	v_mul_f64_e32 v[58:59], s[36:37], v[180:181]
	v_add_f64_e32 v[36:37], v[36:37], v[44:45]
	v_mul_f64_e32 v[44:45], s[14:15], v[182:183]
	;; [unrolled: 2-line block ×3, first 2 shown]
	v_add_f64_e64 v[54:55], v[54:55], -v[198:199]
	v_add_f64_e32 v[52:53], v[200:201], v[52:53]
	v_mul_f64_e32 v[198:199], s[54:55], v[174:175]
	v_mul_f64_e32 v[200:201], s[46:47], v[170:171]
	v_add_f64_e32 v[82:83], v[26:27], v[56:57]
	v_fma_f64 v[64:65], v[176:177], s[30:31], v[58:59]
	v_fma_f64 v[58:59], v[176:177], s[30:31], -v[58:59]
	v_add_f64_e32 v[32:33], v[36:37], v[32:33]
	v_mul_f64_e32 v[36:37], s[26:27], v[182:183]
	v_add_f64_e32 v[34:35], v[38:39], v[34:35]
	v_add_f64_e64 v[46:47], v[46:47], -v[206:207]
	v_add_f64_e32 v[44:45], v[208:209], v[44:45]
	v_mul_f64_e32 v[208:209], s[28:29], v[120:121]
	scratch_load_b64 v[206:207], off, off offset:160 th:TH_LOAD_LU ; 8-byte Folded Reload
	v_add_f64_e32 v[64:65], v[24:25], v[64:65]
	v_add_f64_e32 v[58:59], v[24:25], v[58:59]
	;; [unrolled: 1-line block ×3, first 2 shown]
	v_mul_f64_e32 v[32:33], s[28:29], v[182:183]
	v_add_f64_e32 v[30:31], v[34:35], v[30:31]
	v_fma_f64 v[38:39], v[186:187], s[52:53], v[36:37]
	v_add_f64_e32 v[46:47], v[24:25], v[46:47]
	v_fma_f64 v[36:37], v[186:187], s[50:51], v[36:37]
	v_add_f64_e32 v[44:45], v[26:27], v[44:45]
	v_add_f64_e64 v[208:209], v[208:209], -v[210:211]
	v_mul_f64_e32 v[210:211], s[14:15], v[92:93]
	v_add_f64_e32 v[20:21], v[28:29], v[20:21]
	v_mul_f64_e32 v[28:29], s[30:31], v[182:183]
	v_fma_f64 v[34:35], v[186:187], s[34:35], v[32:33]
	v_fma_f64 v[32:33], v[186:187], s[38:39], v[32:33]
	v_add_f64_e32 v[22:23], v[30:31], v[22:23]
	v_add_f64_e32 v[74:75], v[26:27], v[38:39]
	;; [unrolled: 1-line block ×5, first 2 shown]
	v_add_f64_e64 v[210:211], v[210:211], -v[212:213]
	v_mul_f64_e32 v[212:213], s[26:27], v[100:101]
	v_fma_f64 v[30:31], v[186:187], s[42:43], v[28:29]
	v_fma_f64 v[28:29], v[186:187], s[36:37], v[28:29]
	v_add_f64_e32 v[34:35], v[26:27], v[34:35]
	v_mul_f64_e32 v[186:187], s[14:15], v[162:163]
	v_add_f64_e32 v[38:39], v[210:211], v[38:39]
	scratch_load_b64 v[210:211], off, off offset:152 th:TH_LOAD_LU ; 8-byte Folded Reload
	v_add_f64_e64 v[212:213], v[212:213], -v[214:215]
	v_add_f64_e32 v[30:31], v[26:27], v[30:31]
	v_add_f64_e32 v[28:29], v[26:27], v[28:29]
	s_delay_alu instid0(VALU_DEP_3) | instskip(SKIP_4) | instid1(VALU_DEP_3)
	v_add_f64_e32 v[38:39], v[212:213], v[38:39]
	s_wait_loadcnt 0x2
	v_add_f64_e64 v[70:71], v[70:71], -v[72:73]
	v_add_f64_e32 v[72:73], v[26:27], v[32:33]
	v_mul_f64_e32 v[32:33], s[2:3], v[96:97]
	v_add_f64_e32 v[70:71], v[24:25], v[70:71]
	s_delay_alu instid0(VALU_DEP_2) | instskip(SKIP_1) | instid1(VALU_DEP_2)
	v_fma_f64 v[24:25], v[112:113], s[6:7], v[32:33]
	v_fma_f64 v[32:33], v[112:113], s[40:41], v[32:33]
	v_add_f64_e32 v[24:25], v[24:25], v[30:31]
	v_mul_f64_e32 v[30:31], s[40:41], v[126:127]
	s_delay_alu instid0(VALU_DEP_3)
	v_add_f64_e32 v[28:29], v[32:33], v[28:29]
	v_fma_f64 v[32:33], v[114:115], s[38:39], v[48:49]
	v_fma_f64 v[48:49], v[158:159], s[14:15], -v[198:199]
	v_add_f64_e32 v[24:25], v[50:51], v[24:25]
	v_fma_f64 v[26:27], v[92:93], s[2:3], v[30:31]
	v_mul_f64_e32 v[50:51], s[38:39], v[132:133]
	v_fma_f64 v[30:31], v[92:93], s[2:3], -v[30:31]
	v_add_f64_e32 v[28:29], v[32:33], v[28:29]
	s_delay_alu instid0(VALU_DEP_4) | instskip(NEXT) | instid1(VALU_DEP_4)
	v_add_f64_e32 v[26:27], v[26:27], v[64:65]
	v_fma_f64 v[52:53], v[100:101], s[28:29], v[50:51]
	s_delay_alu instid0(VALU_DEP_4)
	v_add_f64_e32 v[30:31], v[30:31], v[58:59]
	v_fma_f64 v[32:33], v[100:101], s[28:29], -v[50:51]
	v_mul_f64_e32 v[58:59], s[44:45], v[126:127]
	v_mul_f64_e32 v[50:51], s[28:29], v[128:129]
	v_add_f64_e32 v[26:27], v[52:53], v[26:27]
	v_mul_f64_e32 v[52:53], s[10:11], v[116:117]
	v_add_f64_e32 v[30:31], v[32:33], v[30:31]
	s_delay_alu instid0(VALU_DEP_4) | instskip(NEXT) | instid1(VALU_DEP_3)
	v_add_f64_e32 v[50:51], v[234:235], v[50:51]
	v_fma_f64 v[54:55], v[124:125], s[22:23], v[52:53]
	v_fma_f64 v[32:33], v[124:125], s[46:47], v[52:53]
	v_mul_f64_e32 v[52:53], s[30:31], v[116:117]
	s_delay_alu instid0(VALU_DEP_3) | instskip(SKIP_1) | instid1(VALU_DEP_4)
	v_add_f64_e32 v[24:25], v[54:55], v[24:25]
	v_mul_f64_e32 v[54:55], s[46:47], v[136:137]
	v_add_f64_e32 v[28:29], v[32:33], v[28:29]
	s_delay_alu instid0(VALU_DEP_2)
	v_fma_f64 v[56:57], v[108:109], s[10:11], v[54:55]
	v_fma_f64 v[32:33], v[108:109], s[10:11], -v[54:55]
	scratch_load_b64 v[54:55], off, off offset:240 th:TH_LOAD_LU ; 8-byte Folded Reload
	v_add_f64_e32 v[26:27], v[56:57], v[26:27]
	v_mul_f64_e32 v[56:57], s[26:27], v[128:129]
	v_add_f64_e32 v[30:31], v[32:33], v[30:31]
	s_delay_alu instid0(VALU_DEP_2) | instskip(SKIP_2) | instid1(VALU_DEP_3)
	v_fma_f64 v[64:65], v[134:135], s[52:53], v[56:57]
	v_fma_f64 v[32:33], v[134:135], s[50:51], v[56:57]
	v_mul_f64_e32 v[56:57], s[12:13], v[96:97]
	v_add_f64_e32 v[24:25], v[64:65], v[24:25]
	v_mul_f64_e32 v[64:65], s[50:51], v[142:143]
	s_delay_alu instid0(VALU_DEP_4) | instskip(NEXT) | instid1(VALU_DEP_2)
	v_add_f64_e32 v[28:29], v[32:33], v[28:29]
	v_fma_f64 v[84:85], v[120:121], s[26:27], v[64:65]
	v_fma_f64 v[32:33], v[120:121], s[26:27], -v[64:65]
	v_mul_f64_e32 v[64:65], s[14:15], v[104:105]
	s_delay_alu instid0(VALU_DEP_3) | instskip(SKIP_1) | instid1(VALU_DEP_4)
	v_add_f64_e32 v[26:27], v[84:85], v[26:27]
	v_mul_f64_e32 v[84:85], s[12:13], v[144:145]
	v_add_f64_e32 v[30:31], v[32:33], v[30:31]
	s_delay_alu instid0(VALU_DEP_2) | instskip(SKIP_2) | instid1(VALU_DEP_3)
	v_fma_f64 v[86:87], v[156:157], s[16:17], v[84:85]
	v_fma_f64 v[32:33], v[156:157], s[44:45], v[84:85]
	v_mul_f64_e32 v[84:85], s[26:27], v[116:117]
	v_add_f64_e32 v[24:25], v[86:87], v[24:25]
	v_mul_f64_e32 v[86:87], s[44:45], v[168:169]
	s_delay_alu instid0(VALU_DEP_4) | instskip(NEXT) | instid1(VALU_DEP_2)
	v_add_f64_e32 v[28:29], v[32:33], v[28:29]
	v_fma_f64 v[176:177], v[138:139], s[12:13], v[86:87]
	v_fma_f64 v[32:33], v[138:139], s[12:13], -v[86:87]
	v_mul_f64_e32 v[86:87], s[52:53], v[136:137]
	s_wait_loadcnt 0x0
	v_add_f64_e32 v[52:53], v[54:55], v[52:53]
	v_mul_f64_e32 v[54:55], s[26:27], v[104:105]
	v_add_f64_e32 v[26:27], v[176:177], v[26:27]
	v_mul_f64_e32 v[176:177], s[18:19], v[152:153]
	v_add_f64_e32 v[30:31], v[32:33], v[30:31]
	s_delay_alu instid0(VALU_DEP_2) | instskip(SKIP_2) | instid1(VALU_DEP_3)
	v_fma_f64 v[180:181], v[166:167], s[48:49], v[176:177]
	v_fma_f64 v[32:33], v[166:167], s[24:25], v[176:177]
	v_mul_f64_e32 v[176:177], s[2:3], v[128:129]
	v_add_f64_e32 v[24:25], v[180:181], v[24:25]
	v_mul_f64_e32 v[180:181], s[24:25], v[170:171]
	s_delay_alu instid0(VALU_DEP_4) | instskip(NEXT) | instid1(VALU_DEP_2)
	v_add_f64_e32 v[28:29], v[32:33], v[28:29]
	v_fma_f64 v[32:33], v[148:149], s[18:19], -v[180:181]
	v_fma_f64 v[182:183], v[148:149], s[18:19], v[180:181]
	v_mul_f64_e32 v[180:181], s[6:7], v[142:143]
	s_delay_alu instid0(VALU_DEP_3) | instskip(SKIP_1) | instid1(VALU_DEP_4)
	v_add_f64_e32 v[32:33], v[32:33], v[30:31]
	v_fma_f64 v[30:31], v[172:173], s[54:55], v[186:187]
	v_add_f64_e32 v[182:183], v[182:183], v[26:27]
	v_fma_f64 v[26:27], v[172:173], s[20:21], v[186:187]
	v_mul_f64_e32 v[186:187], s[36:37], v[168:169]
	s_delay_alu instid0(VALU_DEP_4)
	v_add_f64_e32 v[30:31], v[30:31], v[28:29]
	v_add_f64_e32 v[28:29], v[48:49], v[32:33]
	v_fma_f64 v[32:33], v[112:113], s[16:17], v[56:57]
	v_fma_f64 v[48:49], v[114:115], s[54:55], v[64:65]
	v_add_f64_e32 v[26:27], v[26:27], v[24:25]
	v_fma_f64 v[24:25], v[158:159], s[14:15], v[198:199]
	v_mul_f64_e32 v[198:199], s[10:11], v[152:153]
	v_fma_f64 v[56:57], v[112:113], s[44:45], v[56:57]
	v_add_f64_e32 v[32:33], v[32:33], v[34:35]
	v_fma_f64 v[34:35], v[92:93], s[12:13], v[58:59]
	v_fma_f64 v[58:59], v[92:93], s[12:13], -v[58:59]
	v_add_f64_e32 v[24:25], v[24:25], v[182:183]
	v_mul_f64_e32 v[182:183], s[30:31], v[144:145]
	v_add_f64_e32 v[56:57], v[56:57], v[72:73]
	v_add_f64_e32 v[32:33], v[48:49], v[32:33]
	;; [unrolled: 1-line block ×3, first 2 shown]
	v_mul_f64_e32 v[66:67], s[20:21], v[132:133]
	v_add_f64_e32 v[58:59], v[58:59], v[60:61]
	v_fma_f64 v[60:61], v[114:115], s[20:21], v[64:65]
	v_fma_f64 v[64:65], v[158:159], s[18:19], -v[204:205]
	s_delay_alu instid0(VALU_DEP_4) | instskip(NEXT) | instid1(VALU_DEP_3)
	v_fma_f64 v[48:49], v[100:101], s[14:15], v[66:67]
	v_add_f64_e32 v[56:57], v[60:61], v[56:57]
	v_fma_f64 v[60:61], v[100:101], s[14:15], -v[66:67]
	s_delay_alu instid0(VALU_DEP_3) | instskip(SKIP_1) | instid1(VALU_DEP_3)
	v_add_f64_e32 v[34:35], v[48:49], v[34:35]
	v_fma_f64 v[48:49], v[124:125], s[50:51], v[84:85]
	v_add_f64_e32 v[58:59], v[60:61], v[58:59]
	v_fma_f64 v[60:61], v[124:125], s[52:53], v[84:85]
	s_delay_alu instid0(VALU_DEP_3) | instskip(SKIP_1) | instid1(VALU_DEP_3)
	v_add_f64_e32 v[32:33], v[48:49], v[32:33]
	v_fma_f64 v[48:49], v[108:109], s[26:27], v[86:87]
	v_add_f64_e32 v[56:57], v[60:61], v[56:57]
	v_fma_f64 v[60:61], v[108:109], s[26:27], -v[86:87]
	scratch_load_b64 v[86:87], off, off offset:40 th:TH_LOAD_LU ; 8-byte Folded Reload
	v_add_f64_e32 v[34:35], v[48:49], v[34:35]
	v_fma_f64 v[48:49], v[134:135], s[40:41], v[176:177]
	v_add_f64_e32 v[58:59], v[60:61], v[58:59]
	v_fma_f64 v[60:61], v[134:135], s[6:7], v[176:177]
	s_delay_alu instid0(VALU_DEP_3) | instskip(SKIP_1) | instid1(VALU_DEP_3)
	v_add_f64_e32 v[32:33], v[48:49], v[32:33]
	v_fma_f64 v[48:49], v[120:121], s[2:3], v[180:181]
	v_add_f64_e32 v[56:57], v[60:61], v[56:57]
	v_fma_f64 v[60:61], v[120:121], s[2:3], -v[180:181]
	s_delay_alu instid0(VALU_DEP_3) | instskip(SKIP_1) | instid1(VALU_DEP_3)
	v_add_f64_e32 v[34:35], v[48:49], v[34:35]
	v_fma_f64 v[48:49], v[156:157], s[42:43], v[182:183]
	v_add_f64_e32 v[58:59], v[60:61], v[58:59]
	v_fma_f64 v[60:61], v[156:157], s[36:37], v[182:183]
	s_delay_alu instid0(VALU_DEP_3) | instskip(SKIP_1) | instid1(VALU_DEP_3)
	v_add_f64_e32 v[32:33], v[48:49], v[32:33]
	v_fma_f64 v[48:49], v[138:139], s[30:31], v[186:187]
	v_add_f64_e32 v[56:57], v[60:61], v[56:57]
	v_fma_f64 v[60:61], v[138:139], s[30:31], -v[186:187]
	s_delay_alu instid0(VALU_DEP_3) | instskip(SKIP_1) | instid1(VALU_DEP_3)
	;; [unrolled: 10-line block ×3, first 2 shown]
	v_add_f64_e32 v[48:49], v[48:49], v[34:35]
	v_fma_f64 v[34:35], v[172:173], s[48:49], v[202:203]
	v_add_f64_e32 v[60:61], v[60:61], v[58:59]
	v_fma_f64 v[58:59], v[172:173], s[24:25], v[202:203]
	s_delay_alu instid0(VALU_DEP_3) | instskip(SKIP_1) | instid1(VALU_DEP_3)
	v_add_f64_e32 v[34:35], v[34:35], v[32:33]
	v_fma_f64 v[32:33], v[158:159], s[18:19], v[204:205]
	v_add_f64_e32 v[58:59], v[58:59], v[56:57]
	v_add_f64_e32 v[56:57], v[64:65], v[60:61]
	s_delay_alu instid0(VALU_DEP_3) | instskip(SKIP_1) | instid1(VALU_DEP_1)
	v_add_f64_e32 v[32:33], v[32:33], v[48:49]
	v_mul_f64_e32 v[48:49], s[18:19], v[144:145]
	v_add_f64_e32 v[48:49], v[94:95], v[48:49]
	scratch_load_b64 v[94:95], off, off offset:176 th:TH_LOAD_LU ; 8-byte Folded Reload
	s_wait_loadcnt 0x0
	v_add_f64_e32 v[54:55], v[94:95], v[54:55]
	v_mul_f64_e32 v[94:95], s[14:15], v[96:97]
	s_delay_alu instid0(VALU_DEP_1) | instskip(SKIP_1) | instid1(VALU_DEP_2)
	v_add_f64_e32 v[94:95], v[206:207], v[94:95]
	v_mul_f64_e32 v[206:207], s[18:19], v[138:139]
	v_add_f64_e32 v[36:37], v[94:95], v[36:37]
	v_mul_f64_e32 v[94:95], s[30:31], v[108:109]
	s_delay_alu instid0(VALU_DEP_3) | instskip(NEXT) | instid1(VALU_DEP_3)
	v_add_f64_e64 v[206:207], v[206:207], -v[226:227]
	v_add_f64_e32 v[36:37], v[54:55], v[36:37]
	s_delay_alu instid0(VALU_DEP_3) | instskip(SKIP_1) | instid1(VALU_DEP_3)
	v_add_f64_e64 v[94:95], v[94:95], -v[210:211]
	v_mul_f64_e32 v[54:55], s[12:13], v[152:153]
	v_add_f64_e32 v[36:37], v[52:53], v[36:37]
	s_delay_alu instid0(VALU_DEP_3)
	v_add_f64_e32 v[38:39], v[94:95], v[38:39]
	scratch_load_b64 v[94:95], off, off offset:200 th:TH_LOAD_LU ; 8-byte Folded Reload
	v_mul_f64_e32 v[52:53], s[12:13], v[148:149]
	v_add_f64_e32 v[54:55], v[216:217], v[54:55]
	v_add_f64_e32 v[36:37], v[50:51], v[36:37]
	v_add_f64_e32 v[38:39], v[208:209], v[38:39]
	scratch_load_b64 v[208:209], off, off offset:184 th:TH_LOAD_LU ; 8-byte Folded Reload
	v_mul_f64_e32 v[50:51], s[2:3], v[162:163]
	v_add_f64_e32 v[36:37], v[48:49], v[36:37]
	v_add_f64_e32 v[38:39], v[206:207], v[38:39]
	scratch_load_b64 v[206:207], off, off offset:168 th:TH_LOAD_LU ; 8-byte Folded Reload
	v_add_f64_e32 v[50:51], v[220:221], v[50:51]
	v_mul_f64_e32 v[48:49], s[2:3], v[158:159]
	v_add_f64_e32 v[36:37], v[54:55], v[36:37]
	v_mul_f64_e32 v[54:55], s[30:31], v[104:105]
	s_delay_alu instid0(VALU_DEP_1)
	v_add_f64_e32 v[54:55], v[230:231], v[54:55]
	s_wait_loadcnt 0x2
	v_add_f64_e64 v[52:53], v[52:53], -v[94:95]
	scratch_load_b64 v[94:95], off, off offset:208 th:TH_LOAD_LU ; 8-byte Folded Reload
	v_add_f64_e32 v[52:53], v[52:53], v[38:39]
	v_add_f64_e32 v[38:39], v[50:51], v[36:37]
	v_mul_f64_e32 v[50:51], s[10:11], v[128:129]
	s_delay_alu instid0(VALU_DEP_1) | instskip(SKIP_4) | instid1(VALU_DEP_2)
	v_add_f64_e32 v[50:51], v[140:141], v[50:51]
	scratch_load_b64 v[140:141], off, off offset:232 th:TH_LOAD_LU ; 8-byte Folded Reload
	s_wait_loadcnt 0x1
	v_add_f64_e64 v[48:49], v[48:49], -v[94:95]
	v_mul_f64_e32 v[94:95], s[26:27], v[96:97]
	v_add_f64_e32 v[36:37], v[48:49], v[52:53]
	v_mul_f64_e32 v[48:49], s[2:3], v[144:145]
	v_mul_f64_e32 v[52:53], s[18:19], v[116:117]
	s_delay_alu instid0(VALU_DEP_2)
	v_add_f64_e32 v[48:49], v[184:185], v[48:49]
	v_mul_f64_e32 v[184:185], s[26:27], v[92:93]
	s_wait_loadcnt 0x0
	v_add_f64_e32 v[94:95], v[140:141], v[94:95]
	v_mul_f64_e32 v[140:141], s[2:3], v[138:139]
	v_add_f64_e32 v[52:53], v[246:247], v[52:53]
	s_delay_alu instid0(VALU_DEP_4)
	v_add_f64_e64 v[184:185], v[184:185], -v[206:207]
	v_mul_f64_e32 v[206:207], s[30:31], v[100:101]
	v_add_f64_e32 v[40:41], v[94:95], v[40:41]
	v_mul_f64_e32 v[94:95], s[18:19], v[108:109]
	v_add_f64_e64 v[102:103], v[140:141], -v[102:103]
	v_mul_f64_e32 v[140:141], s[10:11], v[120:121]
	v_add_f64_e32 v[42:43], v[184:185], v[42:43]
	scratch_load_b64 v[184:185], off, off offset:224 th:TH_LOAD_LU ; 8-byte Folded Reload
	v_add_f64_e64 v[206:207], v[206:207], -v[208:209]
	v_add_f64_e32 v[40:41], v[54:55], v[40:41]
	v_mul_f64_e32 v[54:55], s[14:15], v[152:153]
	v_add_f64_e64 v[140:141], v[140:141], -v[240:241]
	s_delay_alu instid0(VALU_DEP_4) | instskip(NEXT) | instid1(VALU_DEP_4)
	v_add_f64_e32 v[42:43], v[206:207], v[42:43]
	v_add_f64_e32 v[40:41], v[52:53], v[40:41]
	v_mul_f64_e32 v[52:53], s[14:15], v[148:149]
	v_add_f64_e32 v[54:55], v[248:249], v[54:55]
	s_delay_alu instid0(VALU_DEP_3) | instskip(NEXT) | instid1(VALU_DEP_3)
	v_add_f64_e32 v[40:41], v[50:51], v[40:41]
	v_add_f64_e64 v[52:53], v[52:53], -v[236:237]
	v_mul_f64_e32 v[50:51], s[28:29], v[162:163]
	s_delay_alu instid0(VALU_DEP_3) | instskip(SKIP_1) | instid1(VALU_DEP_3)
	v_add_f64_e32 v[40:41], v[48:49], v[40:41]
	v_mul_f64_e32 v[48:49], s[28:29], v[158:159]
	v_add_f64_e32 v[50:51], v[244:245], v[50:51]
	s_delay_alu instid0(VALU_DEP_3) | instskip(NEXT) | instid1(VALU_DEP_3)
	v_add_f64_e32 v[40:41], v[54:55], v[40:41]
	v_add_f64_e64 v[48:49], v[48:49], -v[228:229]
	v_mul_f64_e32 v[54:55], s[18:19], v[104:105]
	s_delay_alu instid0(VALU_DEP_1) | instskip(SKIP_2) | instid1(VALU_DEP_1)
	v_add_f64_e32 v[54:55], v[252:253], v[54:55]
	s_wait_loadcnt 0x0
	v_add_f64_e64 v[94:95], v[94:95], -v[184:185]
	v_add_f64_e32 v[42:43], v[94:95], v[42:43]
	v_mul_f64_e32 v[94:95], s[30:31], v[96:97]
	s_delay_alu instid0(VALU_DEP_2) | instskip(SKIP_4) | instid1(VALU_DEP_3)
	v_add_f64_e32 v[42:43], v[140:141], v[42:43]
	scratch_load_b64 v[140:141], off, off offset:216 th:TH_LOAD_LU ; 8-byte Folded Reload
	v_add_f64_e32 v[94:95], v[232:233], v[94:95]
	v_add_f64_e32 v[42:43], v[102:103], v[42:43]
	v_mul_f64_e32 v[102:103], s[28:29], v[138:139]
	v_add_f64_e32 v[44:45], v[94:95], v[44:45]
	v_mul_f64_e32 v[94:95], s[2:3], v[108:109]
	s_delay_alu instid0(VALU_DEP_4) | instskip(SKIP_2) | instid1(VALU_DEP_4)
	v_add_f64_e32 v[52:53], v[52:53], v[42:43]
	v_add_f64_e32 v[42:43], v[50:51], v[40:41]
	v_mul_f64_e32 v[50:51], s[12:13], v[128:129]
	v_add_f64_e64 v[94:95], v[94:95], -v[224:225]
	v_add_f64_e32 v[44:45], v[54:55], v[44:45]
	v_add_f64_e64 v[102:103], v[102:103], -v[150:151]
	v_mul_f64_e32 v[54:55], s[26:27], v[152:153]
	v_add_f64_e32 v[40:41], v[48:49], v[52:53]
	v_mul_f64_e32 v[52:53], s[2:3], v[116:117]
	v_mul_f64_e32 v[48:49], s[28:29], v[144:145]
	v_add_f64_e32 v[50:51], v[160:161], v[50:51]
	v_add_f64_e32 v[54:55], v[118:119], v[54:55]
	s_delay_alu instid0(VALU_DEP_4) | instskip(SKIP_2) | instid1(VALU_DEP_3)
	v_add_f64_e32 v[52:53], v[110:111], v[52:53]
	v_mul_f64_e32 v[110:111], s[12:13], v[120:121]
	v_add_f64_e32 v[48:49], v[192:193], v[48:49]
	v_add_f64_e32 v[44:45], v[52:53], v[44:45]
	s_delay_alu instid0(VALU_DEP_3) | instskip(SKIP_2) | instid1(VALU_DEP_4)
	v_add_f64_e64 v[98:99], v[110:111], -v[98:99]
	v_mul_f64_e32 v[110:111], s[30:31], v[92:93]
	v_mul_f64_e32 v[52:53], s[26:27], v[148:149]
	v_add_f64_e32 v[44:45], v[50:51], v[44:45]
	v_mul_f64_e32 v[50:51], s[10:11], v[162:163]
	s_delay_alu instid0(VALU_DEP_3) | instskip(SKIP_1) | instid1(VALU_DEP_4)
	v_add_f64_e64 v[52:53], v[52:53], -v[89:90]
	v_mul_f64_e32 v[89:90], s[28:29], v[96:97]
	v_add_f64_e32 v[44:45], v[48:49], v[44:45]
	v_mul_f64_e32 v[48:49], s[10:11], v[158:159]
	v_add_f64_e32 v[50:51], v[106:107], v[50:51]
	;; [unrolled: 2-line block ×3, first 2 shown]
	v_add_f64_e32 v[44:45], v[54:55], v[44:45]
	v_add_f64_e64 v[48:49], v[48:49], -v[250:251]
	v_mul_f64_e32 v[54:55], s[10:11], v[104:105]
	v_add_f64_e64 v[106:107], v[106:107], -v[238:239]
	v_add_f64_e32 v[78:79], v[89:90], v[78:79]
	v_mul_f64_e32 v[89:90], s[12:13], v[108:109]
	s_wait_loadcnt 0x0
	v_add_f64_e64 v[110:111], v[110:111], -v[140:141]
	v_mul_f64_e32 v[140:141], s[18:19], v[100:101]
	v_add_f64_e32 v[54:55], v[130:131], v[54:55]
	v_mul_f64_e32 v[130:131], s[44:45], v[174:175]
	v_add_f64_e64 v[89:90], v[89:90], -v[242:243]
	v_add_f64_e32 v[46:47], v[110:111], v[46:47]
	v_add_f64_e64 v[140:141], v[140:141], -v[218:219]
	v_add_f64_e32 v[54:55], v[54:55], v[78:79]
	s_delay_alu instid0(VALU_DEP_2) | instskip(NEXT) | instid1(VALU_DEP_1)
	v_add_f64_e32 v[46:47], v[140:141], v[46:47]
	v_add_f64_e32 v[46:47], v[94:95], v[46:47]
	v_mul_f64_e32 v[94:95], s[14:15], v[138:139]
	s_delay_alu instid0(VALU_DEP_2) | instskip(SKIP_1) | instid1(VALU_DEP_3)
	v_add_f64_e32 v[46:47], v[98:99], v[46:47]
	v_mul_f64_e32 v[98:99], s[30:31], v[120:121]
	v_add_f64_e64 v[94:95], v[94:95], -v[190:191]
	s_delay_alu instid0(VALU_DEP_3) | instskip(SKIP_1) | instid1(VALU_DEP_4)
	v_add_f64_e32 v[46:47], v[102:103], v[46:47]
	v_mul_f64_e32 v[102:103], s[28:29], v[92:93]
	v_add_f64_e64 v[98:99], v[98:99], -v[154:155]
	s_delay_alu instid0(VALU_DEP_3) | instskip(NEXT) | instid1(VALU_DEP_3)
	v_add_f64_e32 v[52:53], v[52:53], v[46:47]
	v_add_f64_e64 v[102:103], v[102:103], -v[222:223]
	v_add_f64_e32 v[46:47], v[50:51], v[44:45]
	v_mul_f64_e32 v[50:51], s[30:31], v[128:129]
	s_delay_alu instid0(VALU_DEP_4) | instskip(SKIP_4) | instid1(VALU_DEP_4)
	v_add_f64_e32 v[44:45], v[48:49], v[52:53]
	v_mul_f64_e32 v[52:53], s[12:13], v[116:117]
	v_add_f64_e32 v[80:81], v[102:103], v[80:81]
	v_mul_f64_e32 v[48:49], s[14:15], v[144:145]
	v_add_f64_e32 v[50:51], v[194:195], v[50:51]
	v_add_f64_e32 v[52:53], v[178:179], v[52:53]
	s_delay_alu instid0(VALU_DEP_4) | instskip(NEXT) | instid1(VALU_DEP_4)
	v_add_f64_e32 v[78:79], v[106:107], v[80:81]
	v_add_f64_e32 v[48:49], v[196:197], v[48:49]
	v_mul_f64_e32 v[80:81], s[2:3], v[152:153]
	s_delay_alu instid0(VALU_DEP_4) | instskip(NEXT) | instid1(VALU_DEP_4)
	v_add_f64_e32 v[52:53], v[52:53], v[54:55]
	v_add_f64_e32 v[54:55], v[89:90], v[78:79]
	v_mul_f64_e32 v[78:79], s[2:3], v[148:149]
	s_delay_alu instid0(VALU_DEP_4) | instskip(NEXT) | instid1(VALU_DEP_4)
	v_add_f64_e32 v[80:81], v[188:189], v[80:81]
	v_add_f64_e32 v[50:51], v[50:51], v[52:53]
	s_delay_alu instid0(VALU_DEP_4) | instskip(NEXT) | instid1(VALU_DEP_4)
	v_add_f64_e32 v[52:53], v[98:99], v[54:55]
	v_add_f64_e64 v[78:79], v[78:79], -v[146:147]
	v_mul_f64_e32 v[54:55], s[26:27], v[162:163]
	s_delay_alu instid0(VALU_DEP_4) | instskip(NEXT) | instid1(VALU_DEP_4)
	v_add_f64_e32 v[48:49], v[48:49], v[50:51]
	v_add_f64_e32 v[50:51], v[94:95], v[52:53]
	v_mul_f64_e32 v[52:53], s[26:27], v[158:159]
	s_delay_alu instid0(VALU_DEP_4) | instskip(NEXT) | instid1(VALU_DEP_4)
	v_add_f64_e32 v[54:55], v[164:165], v[54:55]
	v_add_f64_e32 v[48:49], v[80:81], v[48:49]
	s_delay_alu instid0(VALU_DEP_4) | instskip(NEXT) | instid1(VALU_DEP_4)
	v_add_f64_e32 v[78:79], v[78:79], v[50:51]
	v_add_f64_e64 v[52:53], v[52:53], -v[122:123]
	s_delay_alu instid0(VALU_DEP_3) | instskip(NEXT) | instid1(VALU_DEP_2)
	v_add_f64_e32 v[50:51], v[54:55], v[48:49]
	v_add_f64_e32 v[48:49], v[52:53], v[78:79]
	v_mul_f64_e32 v[78:79], s[18:19], v[96:97]
	s_delay_alu instid0(VALU_DEP_1) | instskip(SKIP_1) | instid1(VALU_DEP_2)
	v_fma_f64 v[52:53], v[112:113], s[48:49], v[78:79]
	v_fma_f64 v[60:61], v[112:113], s[24:25], v[78:79]
	v_add_f64_e32 v[52:53], v[52:53], v[76:77]
	v_mul_f64_e32 v[76:77], s[48:49], v[126:127]
	s_delay_alu instid0(VALU_DEP_3) | instskip(NEXT) | instid1(VALU_DEP_2)
	v_add_f64_e32 v[60:61], v[60:61], v[74:75]
	v_fma_f64 v[54:55], v[92:93], s[18:19], -v[76:77]
	v_fma_f64 v[74:75], v[92:93], s[18:19], v[76:77]
	scratch_load_b64 v[76:77], off, off offset:16 th:TH_LOAD_LU ; 8-byte Folded Reload
	v_add_f64_e32 v[54:55], v[54:55], v[62:63]
	v_mul_f64_e32 v[62:63], s[2:3], v[104:105]
	v_add_f64_e32 v[68:69], v[74:75], v[68:69]
	scratch_load_b64 v[74:75], off, off offset:32 th:TH_LOAD_LU ; 8-byte Folded Reload
	v_fma_f64 v[80:81], v[114:115], s[6:7], v[62:63]
	v_fma_f64 v[62:63], v[114:115], s[40:41], v[62:63]
	s_delay_alu instid0(VALU_DEP_2) | instskip(SKIP_1) | instid1(VALU_DEP_3)
	v_add_f64_e32 v[52:53], v[80:81], v[52:53]
	v_mul_f64_e32 v[80:81], s[6:7], v[132:133]
	v_add_f64_e32 v[60:61], v[62:63], v[60:61]
	v_mul_f64_e32 v[132:133], s[12:13], v[162:163]
	s_delay_alu instid0(VALU_DEP_3) | instskip(SKIP_1) | instid1(VALU_DEP_3)
	v_fma_f64 v[89:90], v[100:101], s[2:3], -v[80:81]
	v_fma_f64 v[62:63], v[100:101], s[2:3], v[80:81]
	v_fma_f64 v[84:85], v[172:173], s[16:17], v[132:133]
	s_delay_alu instid0(VALU_DEP_3) | instskip(SKIP_1) | instid1(VALU_DEP_4)
	v_add_f64_e32 v[54:55], v[89:90], v[54:55]
	v_mul_f64_e32 v[89:90], s[28:29], v[116:117]
	v_add_f64_e32 v[62:63], v[62:63], v[68:69]
	s_delay_alu instid0(VALU_DEP_2) | instskip(SKIP_1) | instid1(VALU_DEP_2)
	v_fma_f64 v[94:95], v[124:125], s[38:39], v[89:90]
	v_fma_f64 v[78:79], v[124:125], s[34:35], v[89:90]
	v_add_f64_e32 v[52:53], v[94:95], v[52:53]
	v_mul_f64_e32 v[94:95], s[38:39], v[136:137]
	s_delay_alu instid0(VALU_DEP_3) | instskip(SKIP_3) | instid1(VALU_DEP_2)
	v_add_f64_e32 v[60:61], v[78:79], v[60:61]
	scratch_load_b64 v[78:79], off, off offset:72 th:TH_LOAD_LU ; 8-byte Folded Reload
	v_fma_f64 v[98:99], v[108:109], s[28:29], -v[94:95]
	v_fma_f64 v[68:69], v[108:109], s[28:29], v[94:95]
	v_add_f64_e32 v[54:55], v[98:99], v[54:55]
	v_mul_f64_e32 v[98:99], s[14:15], v[128:129]
	s_delay_alu instid0(VALU_DEP_3) | instskip(NEXT) | instid1(VALU_DEP_2)
	v_add_f64_e32 v[62:63], v[68:69], v[62:63]
	v_fma_f64 v[102:103], v[134:135], s[54:55], v[98:99]
	v_fma_f64 v[72:73], v[134:135], s[20:21], v[98:99]
	s_delay_alu instid0(VALU_DEP_2) | instskip(SKIP_1) | instid1(VALU_DEP_3)
	v_add_f64_e32 v[52:53], v[102:103], v[52:53]
	v_mul_f64_e32 v[102:103], s[54:55], v[142:143]
	v_add_f64_e32 v[60:61], v[72:73], v[60:61]
	scratch_load_b64 v[72:73], off, off offset:48 th:TH_LOAD_LU ; 8-byte Folded Reload
	v_fma_f64 v[106:107], v[120:121], s[14:15], -v[102:103]
	v_fma_f64 v[68:69], v[120:121], s[14:15], v[102:103]
	s_delay_alu instid0(VALU_DEP_2) | instskip(SKIP_1) | instid1(VALU_DEP_3)
	v_add_f64_e32 v[54:55], v[106:107], v[54:55]
	v_mul_f64_e32 v[106:107], s[10:11], v[144:145]
	v_add_f64_e32 v[62:63], v[68:69], v[62:63]
	scratch_load_b64 v[68:69], off, off offset:64 th:TH_LOAD_LU ; 8-byte Folded Reload
	v_fma_f64 v[110:111], v[156:157], s[22:23], v[106:107]
	v_fma_f64 v[66:67], v[156:157], s[46:47], v[106:107]
	s_delay_alu instid0(VALU_DEP_2) | instskip(SKIP_1) | instid1(VALU_DEP_3)
	v_add_f64_e32 v[52:53], v[110:111], v[52:53]
	v_mul_f64_e32 v[110:111], s[22:23], v[168:169]
	v_add_f64_e32 v[60:61], v[66:67], v[60:61]
	s_delay_alu instid0(VALU_DEP_2) | instskip(SKIP_1) | instid1(VALU_DEP_2)
	v_fma_f64 v[118:119], v[138:139], s[10:11], -v[110:111]
	v_fma_f64 v[66:67], v[138:139], s[10:11], v[110:111]
	v_add_f64_e32 v[54:55], v[118:119], v[54:55]
	v_mul_f64_e32 v[118:119], s[30:31], v[152:153]
	s_delay_alu instid0(VALU_DEP_3) | instskip(SKIP_1) | instid1(VALU_DEP_3)
	v_add_f64_e32 v[62:63], v[66:67], v[62:63]
	v_fma_f64 v[66:67], v[158:159], s[12:13], v[130:131]
	v_fma_f64 v[122:123], v[166:167], s[36:37], v[118:119]
	v_fma_f64 v[64:65], v[166:167], s[42:43], v[118:119]
	s_delay_alu instid0(VALU_DEP_2) | instskip(SKIP_1) | instid1(VALU_DEP_3)
	v_add_f64_e32 v[52:53], v[122:123], v[52:53]
	v_mul_f64_e32 v[122:123], s[36:37], v[170:171]
	v_add_f64_e32 v[60:61], v[64:65], v[60:61]
	s_delay_alu instid0(VALU_DEP_2) | instskip(SKIP_1) | instid1(VALU_DEP_2)
	v_fma_f64 v[64:65], v[148:149], s[30:31], v[122:123]
	v_fma_f64 v[126:127], v[148:149], s[30:31], -v[122:123]
	v_add_f64_e32 v[64:65], v[64:65], v[62:63]
	s_delay_alu instid0(VALU_DEP_4)
	v_add_f64_e32 v[62:63], v[84:85], v[60:61]
	s_clause 0x1
	scratch_load_b64 v[84:85], off, off offset:24 th:TH_LOAD_LU
	scratch_load_b64 v[80:81], off, off offset:8 th:TH_LOAD_LU
	v_add_f64_e32 v[126:127], v[126:127], v[54:55]
	v_fma_f64 v[54:55], v[172:173], s[44:45], v[132:133]
	v_add_f64_e32 v[60:61], v[66:67], v[64:65]
	scratch_load_b64 v[66:67], off, off offset:80 th:TH_LOAD_LU ; 8-byte Folded Reload
	v_mul_f64_e32 v[64:65], s[26:27], v[144:145]
	v_add_f64_e32 v[54:55], v[54:55], v[52:53]
	v_fma_f64 v[52:53], v[158:159], s[12:13], -v[130:131]
	s_delay_alu instid0(VALU_DEP_1) | instskip(SKIP_1) | instid1(VALU_DEP_4)
	v_add_f64_e32 v[52:53], v[52:53], v[126:127]
	s_wait_loadcnt 0x0
	v_add_f64_e32 v[64:65], v[66:67], v[64:65]
	v_mul_f64_e32 v[66:67], s[18:19], v[128:129]
	s_delay_alu instid0(VALU_DEP_1) | instskip(SKIP_1) | instid1(VALU_DEP_1)
	v_add_f64_e32 v[66:67], v[68:69], v[66:67]
	v_mul_f64_e32 v[68:69], s[14:15], v[116:117]
	v_add_f64_e32 v[68:69], v[72:73], v[68:69]
	v_mul_f64_e32 v[72:73], s[12:13], v[104:105]
	s_delay_alu instid0(VALU_DEP_1) | instskip(SKIP_1) | instid1(VALU_DEP_1)
	v_add_f64_e32 v[72:73], v[74:75], v[72:73]
	v_mul_f64_e32 v[74:75], s[10:11], v[96:97]
	v_add_f64_e32 v[74:75], v[76:77], v[74:75]
	v_mul_f64_e32 v[76:77], s[26:27], v[138:139]
	s_delay_alu instid0(VALU_DEP_2)
	v_add_f64_e32 v[74:75], v[74:75], v[82:83]
	scratch_load_b64 v[82:83], off, off offset:56 th:TH_LOAD_LU ; 8-byte Folded Reload
	v_add_f64_e64 v[76:77], v[76:77], -v[78:79]
	v_mul_f64_e32 v[78:79], s[10:11], v[92:93]
	v_add_f64_e32 v[72:73], v[72:73], v[74:75]
	v_mul_f64_e32 v[74:75], s[28:29], v[152:153]
	s_delay_alu instid0(VALU_DEP_3) | instskip(SKIP_1) | instid1(VALU_DEP_4)
	v_add_f64_e64 v[78:79], v[78:79], -v[80:81]
	v_mul_f64_e32 v[80:81], s[12:13], v[100:101]
	v_add_f64_e32 v[68:69], v[68:69], v[72:73]
	v_mul_f64_e32 v[72:73], s[28:29], v[148:149]
	s_delay_alu instid0(VALU_DEP_4) | instskip(NEXT) | instid1(VALU_DEP_4)
	v_add_f64_e32 v[70:71], v[78:79], v[70:71]
	v_add_f64_e64 v[80:81], v[80:81], -v[84:85]
	v_mul_f64_e32 v[84:85], s[14:15], v[108:109]
	v_mul_f64_e32 v[78:79], s[18:19], v[120:121]
	v_add_f64_e32 v[66:67], v[66:67], v[68:69]
	s_delay_alu instid0(VALU_DEP_4) | instskip(SKIP_3) | instid1(VALU_DEP_2)
	v_add_f64_e32 v[70:71], v[80:81], v[70:71]
	scratch_load_b64 v[80:81], off, off offset:96 th:TH_LOAD_LU ; 8-byte Folded Reload
	v_add_f64_e64 v[84:85], v[84:85], -v[86:87]
	v_add_f64_e32 v[64:65], v[64:65], v[66:67]
	v_add_f64_e32 v[70:71], v[84:85], v[70:71]
	s_wait_loadcnt 0x1
	v_add_f64_e64 v[78:79], v[78:79], -v[82:83]
	s_delay_alu instid0(VALU_DEP_1)
	v_add_f64_e32 v[68:69], v[78:79], v[70:71]
	scratch_load_b64 v[78:79], off, off offset:112 th:TH_LOAD_LU ; 8-byte Folded Reload
	v_mul_f64_e32 v[70:71], s[30:31], v[162:163]
	v_add_f64_e32 v[66:67], v[76:77], v[68:69]
	v_mul_f64_e32 v[68:69], s[30:31], v[158:159]
	scratch_load_b64 v[76:77], off, off offset:104 th:TH_LOAD_LU ; 8-byte Folded Reload
	s_wait_loadcnt 0x2
	v_add_f64_e32 v[74:75], v[80:81], v[74:75]
	scratch_load_b64 v[80:81], off, off offset:88 th:TH_LOAD_LU ; 8-byte Folded Reload
	v_add_f64_e32 v[64:65], v[74:75], v[64:65]
	s_wait_loadcnt 0x2
	v_add_f64_e32 v[70:71], v[78:79], v[70:71]
	s_wait_loadcnt 0x1
	v_add_f64_e64 v[68:69], v[68:69], -v[76:77]
	s_wait_loadcnt 0x0
	v_add_f64_e64 v[72:73], v[72:73], -v[80:81]
	s_delay_alu instid0(VALU_DEP_1) | instskip(NEXT) | instid1(VALU_DEP_4)
	v_add_f64_e32 v[72:73], v[72:73], v[66:67]
	v_add_f64_e32 v[66:67], v[70:71], v[64:65]
	s_delay_alu instid0(VALU_DEP_2)
	v_add_f64_e32 v[64:65], v[68:69], v[72:73]
	v_lshl_add_u32 v68, v88, 8, v91
	ds_store_b128 v68, v[36:39] offset:32
	ds_store_b128 v68, v[40:43] offset:48
	;; [unrolled: 1-line block ×15, first 2 shown]
	ds_store_b128 v68, v[20:23]
	ds_store_b128 v68, v[0:3] offset:256
.LBB0_19:
	s_wait_alu 0xfffe
	s_or_b32 exec_lo, exec_lo, s1
	v_and_b32_e32 v79, 0xff, v88
	v_add_nc_u32_e32 v80, 0xaa, v88
	v_add_nc_u32_e32 v20, 0x154, v88
	global_wb scope:SCOPE_SE
	s_wait_dscnt 0x0
	s_barrier_signal -1
	v_mul_lo_u16 v21, 0xf1, v79
	v_and_b32_e32 v23, 0xffff, v80
	s_barrier_wait -1
	global_inv scope:SCOPE_SE
	v_add_nc_u32_e32 v87, 0x1fe, v88
	v_lshrrev_b16 v22, 12, v21
	v_mul_u32_u24_e32 v21, 0xf0f1, v23
	v_and_b32_e32 v23, 0xffff, v20
	s_mov_b32 s0, 0xe8584caa
	s_mov_b32 s1, 0x3febb67a
	v_mul_lo_u16 v24, v22, 17
	v_lshrrev_b32_e32 v26, 20, v21
	v_mul_u32_u24_e32 v28, 0xf0f1, v23
	v_and_b32_e32 v22, 0xffff, v22
	s_mov_b32 s3, 0xbfebb67a
	v_sub_nc_u16 v23, v88, v24
	v_mul_lo_u16 v24, v26, 17
	v_lshrrev_b32_e32 v25, 20, v28
	s_wait_alu 0xfffe
	s_mov_b32 s2, s0
	v_and_b32_e32 v23, 0xff, v23
	v_sub_nc_u16 v24, v80, v24
	v_mul_lo_u16 v27, v25, 17
	v_mul_u32_u24_e32 v25, 0x440, v25
	s_delay_alu instid0(VALU_DEP_4) | instskip(NEXT) | instid1(VALU_DEP_4)
	v_mul_u32_u24_e32 v29, 3, v23
	v_and_b32_e32 v24, 0xffff, v24
	s_delay_alu instid0(VALU_DEP_4) | instskip(SKIP_1) | instid1(VALU_DEP_4)
	v_sub_nc_u16 v27, v20, v27
	v_lshlrev_b32_e32 v23, 4, v23
	v_lshlrev_b32_e32 v37, 4, v29
	s_delay_alu instid0(VALU_DEP_4) | instskip(NEXT) | instid1(VALU_DEP_4)
	v_mul_u32_u24_e32 v38, 3, v24
	v_and_b32_e32 v27, 0xffff, v27
	v_lshlrev_b32_e32 v24, 4, v24
	s_clause 0x1
	global_load_b128 v[29:32], v37, s[4:5] offset:16
	global_load_b128 v[33:36], v37, s[4:5]
	v_lshlrev_b32_e32 v49, 4, v38
	v_mul_u32_u24_e32 v45, 3, v27
	s_clause 0x1
	global_load_b128 v[37:40], v37, s[4:5] offset:32
	global_load_b128 v[41:44], v49, s[4:5]
	v_lshlrev_b32_e32 v61, 4, v45
	s_clause 0x4
	global_load_b128 v[45:48], v49, s[4:5] offset:16
	global_load_b128 v[49:52], v49, s[4:5] offset:32
	global_load_b128 v[53:56], v61, s[4:5]
	global_load_b128 v[57:60], v61, s[4:5] offset:16
	global_load_b128 v[61:64], v61, s[4:5] offset:32
	ds_load_b128 v[65:68], v91 offset:8160
	ds_load_b128 v[69:72], v91 offset:16320
	;; [unrolled: 1-line block ×10, first 2 shown]
	s_wait_loadcnt_dscnt 0x808
	v_mul_f64_e32 v[85:86], v[71:72], v[31:32]
	s_wait_loadcnt 0x7
	v_mul_f64_e32 v[77:78], v[67:68], v[35:36]
	v_mul_f64_e32 v[35:36], v[65:66], v[35:36]
	;; [unrolled: 1-line block ×3, first 2 shown]
	s_wait_loadcnt_dscnt 0x607
	v_mul_f64_e32 v[89:90], v[75:76], v[39:40]
	v_mul_f64_e32 v[39:40], v[73:74], v[39:40]
	s_wait_loadcnt_dscnt 0x506
	v_mul_f64_e32 v[116:117], v[83:84], v[43:44]
	v_mul_f64_e32 v[43:44], v[81:82], v[43:44]
	s_wait_loadcnt_dscnt 0x405
	v_mul_f64_e32 v[118:119], v[94:95], v[47:48]
	v_mul_f64_e32 v[47:48], v[92:93], v[47:48]
	s_wait_loadcnt_dscnt 0x304
	v_mul_f64_e32 v[120:121], v[98:99], v[51:52]
	v_mul_f64_e32 v[51:52], v[96:97], v[51:52]
	s_wait_loadcnt_dscnt 0x203
	v_mul_f64_e32 v[122:123], v[102:103], v[55:56]
	v_mul_f64_e32 v[55:56], v[100:101], v[55:56]
	s_wait_loadcnt_dscnt 0x102
	v_mul_f64_e32 v[124:125], v[106:107], v[59:60]
	v_mul_f64_e32 v[59:60], v[104:105], v[59:60]
	s_wait_loadcnt_dscnt 0x1
	v_mul_f64_e32 v[126:127], v[110:111], v[63:64]
	v_mul_f64_e32 v[63:64], v[108:109], v[63:64]
	v_fma_f64 v[69:70], v[69:70], v[29:30], -v[85:86]
	v_fma_f64 v[65:66], v[65:66], v[33:34], -v[77:78]
	v_fma_f64 v[67:68], v[67:68], v[33:34], v[35:36]
	v_fma_f64 v[71:72], v[71:72], v[29:30], v[31:32]
	ds_load_b128 v[29:32], v91
	ds_load_b128 v[33:36], v91 offset:2720
	v_fma_f64 v[73:74], v[73:74], v[37:38], -v[89:90]
	v_fma_f64 v[37:38], v[75:76], v[37:38], v[39:40]
	v_fma_f64 v[39:40], v[81:82], v[41:42], -v[116:117]
	v_fma_f64 v[41:42], v[83:84], v[41:42], v[43:44]
	;; [unrolled: 2-line block ×7, first 2 shown]
	v_lshrrev_b32_e32 v105, 22, v21
	v_lshrrev_b32_e32 v106, 22, v28
	v_mul_u32_u24_e32 v21, 0x440, v22
	v_mul_u32_u24_e32 v22, 0x440, v26
	global_wb scope:SCOPE_SE
	s_wait_dscnt 0x0
	v_mul_lo_u16 v28, 0x44, v105
	s_barrier_signal -1
	s_barrier_wait -1
	global_inv scope:SCOPE_SE
	v_add_f64_e64 v[63:64], v[29:30], -v[69:70]
	v_add_f64_e64 v[69:70], v[31:32], -v[71:72]
	;; [unrolled: 1-line block ×12, first 2 shown]
	v_fma_f64 v[59:60], v[29:30], 2.0, -v[63:64]
	v_fma_f64 v[83:84], v[31:32], 2.0, -v[69:70]
	v_fma_f64 v[49:50], v[65:66], 2.0, -v[71:72]
	v_fma_f64 v[57:58], v[67:68], 2.0, -v[37:38]
	v_add_f64_e64 v[29:30], v[63:64], -v[37:38]
	v_add_f64_e32 v[31:32], v[69:70], v[71:72]
	v_fma_f64 v[67:68], v[33:34], 2.0, -v[73:74]
	v_fma_f64 v[85:86], v[35:36], 2.0, -v[75:76]
	v_fma_f64 v[61:62], v[39:40], 2.0, -v[43:44]
	v_fma_f64 v[65:66], v[41:42], 2.0, -v[45:46]
	v_add_f64_e64 v[33:34], v[73:74], -v[45:46]
	v_add_f64_e32 v[35:36], v[75:76], v[43:44]
	;; [unrolled: 6-line block ×3, first 2 shown]
	v_add_f64_e64 v[37:38], v[59:60], -v[49:50]
	v_add_f64_e64 v[39:40], v[83:84], -v[57:58]
	v_fma_f64 v[55:56], v[69:70], 2.0, -v[31:32]
	v_add_f64_e64 v[45:46], v[67:68], -v[61:62]
	v_add_f64_e64 v[47:48], v[85:86], -v[65:66]
	v_fma_f64 v[57:58], v[73:74], 2.0, -v[33:34]
	v_add_f64_e64 v[49:50], v[89:90], -v[51:52]
	v_add_f64_e64 v[51:52], v[92:93], -v[53:54]
	v_mul_lo_u16 v53, 0x79, v79
	v_and_b32_e32 v54, 0xffff, v87
	v_fma_f64 v[65:66], v[77:78], 2.0, -v[41:42]
	v_mul_lo_u16 v77, 0x44, v106
	s_delay_alu instid0(VALU_DEP_4) | instskip(NEXT) | instid1(VALU_DEP_4)
	v_lshrrev_b16 v104, 13, v53
	v_mul_u32_u24_e32 v79, 0xf0f1, v54
	v_fma_f64 v[53:54], v[63:64], 2.0, -v[29:30]
	s_delay_alu instid0(VALU_DEP_4) | instskip(NEXT) | instid1(VALU_DEP_4)
	v_sub_nc_u16 v20, v20, v77
	v_mul_lo_u16 v94, 0x44, v104
	s_delay_alu instid0(VALU_DEP_4) | instskip(NEXT) | instid1(VALU_DEP_3)
	v_lshrrev_b32_e32 v107, 22, v79
	v_and_b32_e32 v109, 0xffff, v20
	v_add3_u32 v20, 0, v21, v23
	s_delay_alu instid0(VALU_DEP_4) | instskip(NEXT) | instid1(VALU_DEP_4)
	v_sub_nc_u16 v26, v88, v94
	v_mul_lo_u16 v78, 0x44, v107
	v_add3_u32 v21, 0, v22, v24
	s_delay_alu instid0(VALU_DEP_3) | instskip(SKIP_1) | instid1(VALU_DEP_4)
	v_and_b32_e32 v108, 0xff, v26
	v_sub_nc_u16 v26, v80, v28
	v_sub_nc_u16 v28, v87, v78
	v_fma_f64 v[61:62], v[59:60], 2.0, -v[37:38]
	v_fma_f64 v[63:64], v[83:84], 2.0, -v[39:40]
	;; [unrolled: 1-line block ×3, first 2 shown]
	v_and_b32_e32 v87, 0xffff, v26
	v_lshlrev_b32_e32 v26, 4, v27
	v_lshlrev_b32_e32 v77, 5, v108
	v_fma_f64 v[69:70], v[67:68], 2.0, -v[45:46]
	v_fma_f64 v[71:72], v[85:86], 2.0, -v[47:48]
	;; [unrolled: 1-line block ×3, first 2 shown]
	v_lshlrev_b32_e32 v78, 5, v87
	v_add3_u32 v22, 0, v25, v26
	v_and_b32_e32 v110, 0xffff, v28
	v_fma_f64 v[73:74], v[89:90], 2.0, -v[49:50]
	v_fma_f64 v[75:76], v[92:93], 2.0, -v[51:52]
	ds_store_b128 v20, v[37:40] offset:544
	ds_store_b128 v20, v[29:32] offset:816
	ds_store_b128 v20, v[61:64]
	ds_store_b128 v20, v[53:56] offset:272
	ds_store_b128 v21, v[45:48] offset:544
	;; [unrolled: 1-line block ×3, first 2 shown]
	ds_store_b128 v21, v[69:72]
	ds_store_b128 v21, v[57:60] offset:272
	ds_store_b128 v22, v[73:76]
	ds_store_b128 v22, v[65:68] offset:272
	ds_store_b128 v22, v[49:52] offset:544
	;; [unrolled: 1-line block ×3, first 2 shown]
	global_wb scope:SCOPE_SE
	s_wait_dscnt 0x0
	s_barrier_signal -1
	s_barrier_wait -1
	global_inv scope:SCOPE_SE
	s_clause 0x1
	global_load_b128 v[20:23], v77, s[4:5] offset:816
	global_load_b128 v[24:27], v77, s[4:5] offset:832
	v_lshlrev_b32_e32 v40, 5, v109
	s_clause 0x1
	global_load_b128 v[28:31], v78, s[4:5] offset:816
	global_load_b128 v[32:35], v78, s[4:5] offset:832
	v_lshlrev_b32_e32 v48, 5, v110
	s_clause 0x3
	global_load_b128 v[36:39], v40, s[4:5] offset:816
	global_load_b128 v[40:43], v40, s[4:5] offset:832
	;; [unrolled: 1-line block ×4, first 2 shown]
	ds_load_b128 v[52:55], v91 offset:10880
	ds_load_b128 v[56:59], v91 offset:21760
	;; [unrolled: 1-line block ×8, first 2 shown]
	s_wait_loadcnt_dscnt 0x707
	v_mul_f64_e32 v[85:86], v[54:55], v[22:23]
	v_mul_f64_e32 v[22:23], v[52:53], v[22:23]
	s_wait_loadcnt_dscnt 0x606
	v_mul_f64_e32 v[89:90], v[58:59], v[26:27]
	v_mul_f64_e32 v[26:27], v[56:57], v[26:27]
	;; [unrolled: 3-line block ×8, first 2 shown]
	v_fma_f64 v[52:53], v[52:53], v[20:21], -v[85:86]
	v_fma_f64 v[54:55], v[54:55], v[20:21], v[22:23]
	v_fma_f64 v[56:57], v[56:57], v[24:25], -v[89:90]
	v_fma_f64 v[58:59], v[58:59], v[24:25], v[26:27]
	;; [unrolled: 2-line block ×8, first 2 shown]
	ds_load_b128 v[20:23], v91
	ds_load_b128 v[24:27], v91 offset:2720
	ds_load_b128 v[28:31], v91 offset:5440
	;; [unrolled: 1-line block ×3, first 2 shown]
	global_wb scope:SCOPE_SE
	s_wait_dscnt 0x0
	s_barrier_signal -1
	s_barrier_wait -1
	global_inv scope:SCOPE_SE
	v_add_f64_e32 v[85:86], v[20:21], v[52:53]
	v_add_f64_e32 v[50:51], v[52:53], v[56:57]
	;; [unrolled: 1-line block ×3, first 2 shown]
	v_add_f64_e64 v[89:90], v[54:55], -v[58:59]
	v_add_f64_e32 v[54:55], v[22:23], v[54:55]
	v_add_f64_e32 v[72:73], v[60:61], v[64:65]
	;; [unrolled: 1-line block ×13, first 2 shown]
	v_add_f64_e64 v[62:63], v[62:63], -v[66:67]
	v_add_f64_e64 v[60:61], v[60:61], -v[64:65]
	v_add_f64_e64 v[68:69], v[68:69], -v[38:39]
	v_fma_f64 v[20:21], v[50:51], -0.5, v[20:21]
	v_add_f64_e64 v[50:51], v[52:53], -v[56:57]
	v_fma_f64 v[22:23], v[70:71], -0.5, v[22:23]
	v_add_f64_e64 v[70:71], v[36:37], -v[40:41]
	v_fma_f64 v[24:25], v[72:73], -0.5, v[24:25]
	v_fma_f64 v[26:27], v[74:75], -0.5, v[26:27]
	v_add_f64_e32 v[36:37], v[96:97], v[38:39]
	v_add_f64_e32 v[38:39], v[98:99], v[40:41]
	v_fma_f64 v[72:73], v[76:77], -0.5, v[28:29]
	v_fma_f64 v[74:75], v[78:79], -0.5, v[30:31]
	v_add_f64_e64 v[76:77], v[44:45], -v[48:49]
	v_add_f64_e32 v[28:29], v[85:86], v[56:57]
	v_fma_f64 v[78:79], v[81:82], -0.5, v[32:33]
	v_add_f64_e64 v[81:82], v[42:43], -v[46:47]
	v_fma_f64 v[83:84], v[83:84], -0.5, v[34:35]
	v_add_f64_e32 v[30:31], v[54:55], v[58:59]
	v_add_f64_e32 v[40:41], v[100:101], v[46:47]
	;; [unrolled: 1-line block ×5, first 2 shown]
	v_fma_f64 v[44:45], v[89:90], s[0:1], v[20:21]
	s_wait_alu 0xfffe
	v_fma_f64 v[48:49], v[89:90], s[2:3], v[20:21]
	v_fma_f64 v[46:47], v[50:51], s[2:3], v[22:23]
	;; [unrolled: 1-line block ×15, first 2 shown]
	v_and_b32_e32 v68, 0xffff, v104
	v_lshlrev_b32_e32 v72, 4, v108
	v_mul_u32_u24_e32 v69, 0xcc0, v105
	v_lshlrev_b32_e32 v73, 4, v87
	v_mul_u32_u24_e32 v70, 0xcc0, v106
	v_mul_u32_u24_e32 v68, 0xcc0, v68
	;; [unrolled: 1-line block ×3, first 2 shown]
	v_lshlrev_b32_e32 v74, 4, v109
	v_lshlrev_b32_e32 v75, 4, v110
	v_add3_u32 v69, 0, v69, v73
	v_add3_u32 v68, 0, v68, v72
	v_cmp_gt_u32_e64 s0, 34, v88
	v_add3_u32 v70, 0, v70, v74
	v_add3_u32 v71, 0, v71, v75
	ds_store_b128 v68, v[28:31]
	ds_store_b128 v68, v[44:47] offset:1088
	ds_store_b128 v68, v[48:51] offset:2176
	ds_store_b128 v69, v[32:35]
	ds_store_b128 v69, v[52:55] offset:1088
	ds_store_b128 v69, v[56:59] offset:2176
	;; [unrolled: 3-line block ×4, first 2 shown]
	global_wb scope:SCOPE_SE
	s_wait_dscnt 0x0
	s_barrier_signal -1
	s_barrier_wait -1
	global_inv scope:SCOPE_SE
	ds_load_b128 v[40:43], v91
	ds_load_b128 v[60:63], v91 offset:3264
	ds_load_b128 v[48:51], v91 offset:6528
	;; [unrolled: 1-line block ×9, first 2 shown]
                                        ; implicit-def: $vgpr38_vgpr39
                                        ; implicit-def: $vgpr30_vgpr31
                                        ; implicit-def: $vgpr34_vgpr35
	s_and_saveexec_b32 s1, s0
	s_cbranch_execz .LBB0_21
; %bb.20:
	ds_load_b128 v[20:23], v91 offset:2720
	ds_load_b128 v[24:27], v91 offset:5984
	;; [unrolled: 1-line block ×10, first 2 shown]
.LBB0_21:
	s_wait_alu 0xfffe
	s_or_b32 exec_lo, exec_lo, s1
	v_mul_u32_u24_e32 v81, 9, v88
	s_mov_b32 s2, 0x134454ff
	s_mov_b32 s3, 0x3fee6f0e
	;; [unrolled: 1-line block ×3, first 2 shown]
	s_wait_alu 0xfffe
	s_mov_b32 s6, s2
	v_lshlrev_b32_e32 v85, 4, v81
	s_mov_b32 s10, 0x4755a5e
	s_mov_b32 s11, 0x3fe2cf23
	;; [unrolled: 1-line block ×3, first 2 shown]
	s_wait_alu 0xfffe
	s_mov_b32 s12, s10
	s_clause 0x8
	global_load_b128 v[81:84], v85, s[4:5] offset:3024
	global_load_b128 v[92:95], v85, s[4:5] offset:3056
	;; [unrolled: 1-line block ×9, first 2 shown]
	s_mov_b32 s14, 0x372fe950
	s_mov_b32 s15, 0x3fd3c6ef
	;; [unrolled: 1-line block ×4, first 2 shown]
	global_wb scope:SCOPE_SE
	s_wait_loadcnt_dscnt 0x0
	s_barrier_signal -1
	s_barrier_wait -1
	global_inv scope:SCOPE_SE
	v_mul_f64_e32 v[85:86], v[70:71], v[83:84]
	v_mul_f64_e32 v[83:84], v[68:69], v[83:84]
	;; [unrolled: 1-line block ×10, first 2 shown]
	v_fma_f64 v[68:69], v[68:69], v[81:82], -v[85:86]
	v_fma_f64 v[70:71], v[70:71], v[81:82], v[83:84]
	v_fma_f64 v[72:73], v[72:73], v[92:93], -v[89:90]
	v_fma_f64 v[74:75], v[74:75], v[92:93], v[94:95]
	v_fma_f64 v[66:67], v[66:67], v[96:97], v[124:125]
	;; [unrolled: 1-line block ×3, first 2 shown]
	v_fma_f64 v[64:65], v[64:65], v[96:97], -v[98:99]
	v_fma_f64 v[76:77], v[76:77], v[100:101], -v[102:103]
	v_mul_f64_e32 v[81:82], v[50:51], v[110:111]
	v_mul_f64_e32 v[83:84], v[48:49], v[110:111]
	;; [unrolled: 1-line block ×8, first 2 shown]
	v_fma_f64 v[60:61], v[60:61], v[104:105], -v[128:129]
	v_fma_f64 v[62:63], v[62:63], v[104:105], v[106:107]
	v_add_f64_e32 v[100:101], v[74:75], v[66:67]
	v_add_f64_e32 v[102:103], v[70:71], v[78:79]
	;; [unrolled: 1-line block ×4, first 2 shown]
	v_fma_f64 v[48:49], v[48:49], v[108:109], -v[81:82]
	v_fma_f64 v[50:51], v[50:51], v[108:109], v[83:84]
	v_fma_f64 v[52:53], v[52:53], v[112:113], -v[85:86]
	v_fma_f64 v[54:55], v[54:55], v[112:113], v[89:90]
	v_fma_f64 v[44:45], v[44:45], v[116:117], -v[92:93]
	v_fma_f64 v[56:57], v[56:57], v[120:121], -v[94:95]
	v_fma_f64 v[46:47], v[46:47], v[116:117], v[96:97]
	v_fma_f64 v[58:59], v[58:59], v[120:121], v[98:99]
	v_add_f64_e64 v[81:82], v[70:71], -v[78:79]
	v_add_f64_e64 v[85:86], v[68:69], -v[76:77]
	;; [unrolled: 1-line block ×12, first 2 shown]
	v_fma_f64 v[92:93], v[100:101], -0.5, v[62:63]
	v_fma_f64 v[94:95], v[102:103], -0.5, v[62:63]
	;; [unrolled: 1-line block ×4, first 2 shown]
	v_add_f64_e32 v[132:133], v[40:41], v[48:49]
	v_add_f64_e32 v[138:139], v[42:43], v[50:51]
	;; [unrolled: 1-line block ×8, first 2 shown]
	v_add_f64_e64 v[134:135], v[50:51], -v[58:59]
	v_add_f64_e64 v[136:137], v[54:55], -v[46:47]
	;; [unrolled: 1-line block ×4, first 2 shown]
	v_fma_f64 v[124:125], v[85:86], s[6:7], v[92:93]
	v_fma_f64 v[126:127], v[89:90], s[2:3], v[94:95]
	;; [unrolled: 1-line block ×8, first 2 shown]
	v_fma_f64 v[68:69], v[100:101], -0.5, v[40:41]
	v_fma_f64 v[40:41], v[102:103], -0.5, v[40:41]
	;; [unrolled: 1-line block ×4, first 2 shown]
	v_add_f64_e32 v[100:101], v[108:109], v[110:111]
	v_add_f64_e32 v[102:103], v[112:113], v[114:115]
	;; [unrolled: 1-line block ×6, first 2 shown]
	v_add_f64_e64 v[116:117], v[58:59], -v[46:47]
	v_add_f64_e64 v[118:119], v[46:47], -v[58:59]
	s_wait_alu 0xfffe
	v_fma_f64 v[108:109], v[89:90], s[12:13], v[124:125]
	v_fma_f64 v[110:111], v[85:86], s[12:13], v[126:127]
	v_fma_f64 v[114:115], v[83:84], s[12:13], v[130:131]
	v_fma_f64 v[83:84], v[83:84], s[10:11], v[98:99]
	v_fma_f64 v[112:113], v[81:82], s[12:13], v[128:129]
	v_fma_f64 v[81:82], v[81:82], s[10:11], v[96:97]
	v_fma_f64 v[85:86], v[85:86], s[10:11], v[94:95]
	v_fma_f64 v[89:90], v[89:90], s[10:11], v[92:93]
	v_add_f64_e64 v[92:93], v[48:49], -v[52:53]
	v_add_f64_e64 v[48:49], v[52:53], -v[48:49]
	;; [unrolled: 1-line block ×4, first 2 shown]
	v_add_f64_e32 v[52:53], v[132:133], v[52:53]
	v_add_f64_e32 v[54:55], v[138:139], v[54:55]
	v_add_f64_e64 v[94:95], v[56:57], -v[44:45]
	v_add_f64_e64 v[96:97], v[44:45], -v[56:57]
	v_fma_f64 v[72:73], v[134:135], s[2:3], v[68:69]
	v_fma_f64 v[68:69], v[134:135], s[6:7], v[68:69]
	;; [unrolled: 1-line block ×16, first 2 shown]
	v_add_f64_e32 v[50:51], v[50:51], v[118:119]
	v_add_f64_e32 v[44:45], v[52:53], v[44:45]
	;; [unrolled: 1-line block ×8, first 2 shown]
	v_fma_f64 v[60:61], v[136:137], s[10:11], v[72:73]
	v_fma_f64 v[62:63], v[136:137], s[12:13], v[68:69]
	;; [unrolled: 1-line block ×8, first 2 shown]
	v_mul_f64_e32 v[72:73], s[10:11], v[108:109]
	v_mul_f64_e32 v[74:75], s[2:3], v[110:111]
	;; [unrolled: 1-line block ×8, first 2 shown]
	v_add_f64_e32 v[44:45], v[44:45], v[56:57]
	v_add_f64_e32 v[46:47], v[46:47], v[58:59]
	;; [unrolled: 1-line block ×4, first 2 shown]
	v_fma_f64 v[76:77], v[92:93], s[14:15], v[60:61]
	v_fma_f64 v[78:79], v[92:93], s[14:15], v[62:63]
	;; [unrolled: 1-line block ×10, first 2 shown]
	v_fma_f64 v[74:75], v[89:90], s[10:11], -v[98:99]
	v_fma_f64 v[81:82], v[108:109], s[16:17], v[100:101]
	v_fma_f64 v[72:73], v[85:86], s[2:3], -v[96:97]
	v_fma_f64 v[83:84], v[110:111], s[14:15], v[102:103]
	v_fma_f64 v[85:86], v[112:113], s[6:7], -v[104:105]
	v_fma_f64 v[89:90], v[114:115], s[12:13], -v[106:107]
	v_add_f64_e32 v[40:41], v[44:45], v[52:53]
	v_add_f64_e32 v[42:43], v[46:47], v[54:55]
	v_add_f64_e64 v[44:45], v[44:45], -v[52:53]
	v_add_f64_e64 v[46:47], v[46:47], -v[54:55]
	v_add_f64_e32 v[48:49], v[76:77], v[64:65]
	v_add_f64_e32 v[52:53], v[92:93], v[68:69]
	;; [unrolled: 1-line block ×8, first 2 shown]
	v_add_f64_e64 v[64:65], v[76:77], -v[64:65]
	v_add_f64_e64 v[66:67], v[66:67], -v[81:82]
	;; [unrolled: 1-line block ×8, first 2 shown]
	ds_store_b128 v91, v[40:43]
	ds_store_b128 v91, v[48:51] offset:3264
	ds_store_b128 v91, v[52:55] offset:6528
	;; [unrolled: 1-line block ×9, first 2 shown]
	s_and_saveexec_b32 s1, s0
	s_cbranch_execz .LBB0_23
; %bb.22:
	v_subrev_nc_u32_e32 v40, 34, v88
	v_mov_b32_e32 v41, 0
	s_delay_alu instid0(VALU_DEP_2) | instskip(NEXT) | instid1(VALU_DEP_1)
	v_cndmask_b32_e64 v40, v40, v80, s0
	v_mul_i32_i24_e32 v40, 9, v40
	s_delay_alu instid0(VALU_DEP_1) | instskip(NEXT) | instid1(VALU_DEP_1)
	v_lshlrev_b64_e32 v[40:41], 4, v[40:41]
	v_add_co_u32 v72, s0, s4, v40
	s_wait_alu 0xf1ff
	s_delay_alu instid0(VALU_DEP_2)
	v_add_co_ci_u32_e64 v73, s0, s5, v41, s0
	s_clause 0x8
	global_load_b128 v[40:43], v[72:73], off offset:3024
	global_load_b128 v[44:47], v[72:73], off offset:3056
	;; [unrolled: 1-line block ×9, first 2 shown]
	s_wait_loadcnt 0x8
	v_mul_f64_e32 v[76:77], v[18:19], v[42:43]
	v_mul_f64_e32 v[42:43], v[16:17], v[42:43]
	s_wait_loadcnt 0x7
	v_mul_f64_e32 v[78:79], v[8:9], v[46:47]
	s_wait_loadcnt 0x6
	;; [unrolled: 2-line block ×3, first 2 shown]
	v_mul_f64_e32 v[82:83], v[36:37], v[54:55]
	v_mul_f64_e32 v[54:55], v[38:39], v[54:55]
	;; [unrolled: 1-line block ×4, first 2 shown]
	s_wait_loadcnt 0x4
	v_mul_f64_e32 v[84:85], v[26:27], v[58:59]
	v_mul_f64_e32 v[58:59], v[24:25], v[58:59]
	v_fma_f64 v[16:17], v[16:17], v[40:41], -v[76:77]
	v_fma_f64 v[18:19], v[18:19], v[40:41], v[42:43]
	v_fma_f64 v[10:11], v[10:11], v[44:45], v[78:79]
	v_fma_f64 v[34:35], v[34:35], v[48:49], v[80:81]
	v_fma_f64 v[38:39], v[38:39], v[52:53], v[82:83]
	v_fma_f64 v[36:37], v[36:37], v[52:53], -v[54:55]
	v_fma_f64 v[8:9], v[8:9], v[44:45], -v[46:47]
	;; [unrolled: 1-line block ×3, first 2 shown]
	s_wait_loadcnt 0x3
	v_mul_f64_e32 v[40:41], v[4:5], v[62:63]
	s_wait_loadcnt 0x2
	v_mul_f64_e32 v[42:43], v[0:1], v[66:67]
	;; [unrolled: 2-line block ×4, first 2 shown]
	v_mul_f64_e32 v[48:49], v[6:7], v[62:63]
	v_mul_f64_e32 v[50:51], v[2:3], v[66:67]
	;; [unrolled: 1-line block ×3, first 2 shown]
	v_fma_f64 v[24:25], v[24:25], v[56:57], -v[84:85]
	v_fma_f64 v[26:27], v[26:27], v[56:57], v[58:59]
	v_mul_f64_e32 v[62:63], v[30:31], v[74:75]
	v_add_f64_e32 v[54:55], v[10:11], v[34:35]
	v_add_f64_e32 v[56:57], v[18:19], v[38:39]
	;; [unrolled: 1-line block ×3, first 2 shown]
	v_add_f64_e64 v[70:71], v[34:35], -v[38:39]
	v_add_f64_e32 v[66:67], v[8:9], v[32:33]
	v_fma_f64 v[6:7], v[6:7], v[60:61], v[40:41]
	v_fma_f64 v[2:3], v[2:3], v[64:65], v[42:43]
	;; [unrolled: 1-line block ×4, first 2 shown]
	v_fma_f64 v[4:5], v[4:5], v[60:61], -v[48:49]
	v_fma_f64 v[0:1], v[0:1], v[64:65], -v[50:51]
	;; [unrolled: 1-line block ×3, first 2 shown]
	v_add_f64_e64 v[40:41], v[10:11], -v[34:35]
	v_add_f64_e64 v[42:43], v[8:9], -v[32:33]
	;; [unrolled: 1-line block ×3, first 2 shown]
	v_fma_f64 v[28:29], v[28:29], v[72:73], -v[62:63]
	v_add_f64_e64 v[52:53], v[18:19], -v[38:39]
	v_add_f64_e64 v[60:61], v[38:39], -v[34:35]
	;; [unrolled: 1-line block ×6, first 2 shown]
	v_add_f64_e32 v[16:17], v[24:25], v[16:17]
	v_fma_f64 v[46:47], v[54:55], -0.5, v[26:27]
	v_fma_f64 v[48:49], v[56:57], -0.5, v[26:27]
	;; [unrolled: 1-line block ×3, first 2 shown]
	v_add_f64_e64 v[58:59], v[18:19], -v[10:11]
	v_fma_f64 v[54:55], v[66:67], -0.5, v[24:25]
	v_add_f64_e64 v[66:67], v[32:33], -v[36:37]
	v_add_f64_e32 v[56:57], v[6:7], v[2:3]
	v_add_f64_e32 v[94:95], v[22:23], v[14:15]
	v_add_f64_e32 v[62:63], v[14:15], v[30:31]
	v_add_f64_e32 v[18:19], v[26:27], v[18:19]
	v_add_f64_e32 v[72:73], v[4:5], v[0:1]
	v_add_f64_e32 v[98:99], v[20:21], v[12:13]
	v_add_f64_e64 v[89:90], v[4:5], -v[0:1]
	v_add_f64_e64 v[26:27], v[14:15], -v[30:31]
	;; [unrolled: 1-line block ×3, first 2 shown]
	v_add_f64_e32 v[80:81], v[12:13], v[28:29]
	v_add_f64_e64 v[92:93], v[12:13], -v[28:29]
	v_add_f64_e32 v[8:9], v[16:17], v[8:9]
	v_fma_f64 v[74:75], v[44:45], s[2:3], v[46:47]
	v_fma_f64 v[76:77], v[42:43], s[6:7], v[48:49]
	;; [unrolled: 1-line block ×8, first 2 shown]
	v_fma_f64 v[24:25], v[56:57], -0.5, v[22:23]
	v_add_f64_e32 v[56:57], v[58:59], v[60:61]
	v_fma_f64 v[22:23], v[62:63], -0.5, v[22:23]
	v_add_f64_e32 v[58:59], v[64:65], v[66:67]
	v_add_f64_e32 v[60:61], v[68:69], v[70:71]
	v_fma_f64 v[62:63], v[72:73], -0.5, v[20:21]
	v_add_f64_e32 v[70:71], v[82:83], v[84:85]
	v_fma_f64 v[20:21], v[80:81], -0.5, v[20:21]
	v_add_f64_e32 v[10:11], v[18:19], v[10:11]
	v_fma_f64 v[64:65], v[42:43], s[10:11], v[74:75]
	v_fma_f64 v[66:67], v[44:45], s[10:11], v[76:77]
	;; [unrolled: 1-line block ×8, first 2 shown]
	v_add_f64_e64 v[48:49], v[14:15], -v[6:7]
	v_add_f64_e64 v[14:15], v[6:7], -v[14:15]
	v_add_f64_e64 v[54:55], v[12:13], -v[4:5]
	v_add_f64_e64 v[12:13], v[4:5], -v[12:13]
	v_add_f64_e32 v[6:7], v[94:95], v[6:7]
	v_add_f64_e32 v[4:5], v[98:99], v[4:5]
	v_add_f64_e64 v[50:51], v[30:31], -v[2:3]
	v_add_f64_e64 v[52:53], v[2:3], -v[30:31]
	;; [unrolled: 1-line block ×3, first 2 shown]
	v_fma_f64 v[16:17], v[92:93], s[2:3], v[24:25]
	v_fma_f64 v[18:19], v[89:90], s[6:7], v[22:23]
	;; [unrolled: 1-line block ×8, first 2 shown]
	v_add_f64_e64 v[76:77], v[0:1], -v[28:29]
	v_fma_f64 v[64:65], v[56:57], s[14:15], v[64:65]
	v_fma_f64 v[66:67], v[60:61], s[14:15], v[66:67]
	;; [unrolled: 1-line block ×8, first 2 shown]
	v_add_f64_e32 v[2:3], v[6:7], v[2:3]
	v_add_f64_e32 v[6:7], v[10:11], v[34:35]
	v_add_f64_e32 v[0:1], v[4:5], v[0:1]
	v_add_f64_e32 v[4:5], v[8:9], v[32:33]
	v_add_f64_e32 v[48:49], v[48:49], v[50:51]
	v_add_f64_e32 v[14:15], v[14:15], v[52:53]
	v_add_f64_e32 v[50:51], v[54:55], v[74:75]
	v_fma_f64 v[8:9], v[89:90], s[10:11], v[16:17]
	v_fma_f64 v[10:11], v[92:93], s[10:11], v[18:19]
	;; [unrolled: 1-line block ×8, first 2 shown]
	v_add_f64_e32 v[12:13], v[12:13], v[76:77]
	v_mul_f64_e32 v[24:25], s[16:17], v[64:65]
	v_mul_f64_e32 v[32:33], s[14:15], v[66:67]
	;; [unrolled: 1-line block ×8, first 2 shown]
	v_add_f64_e32 v[30:31], v[2:3], v[30:31]
	v_add_f64_e32 v[6:7], v[6:7], v[38:39]
	;; [unrolled: 1-line block ×4, first 2 shown]
	v_fma_f64 v[8:9], v[48:49], s[14:15], v[8:9]
	v_fma_f64 v[36:37], v[14:15], s[14:15], v[10:11]
	;; [unrolled: 1-line block ×5, first 2 shown]
	v_fma_f64 v[22:23], v[40:41], s[12:13], -v[24:25]
	v_fma_f64 v[24:25], v[46:47], s[6:7], -v[32:33]
	v_fma_f64 v[32:33], v[44:45], s[14:15], v[34:35]
	v_fma_f64 v[44:45], v[50:51], s[14:15], v[26:27]
	;; [unrolled: 1-line block ×7, first 2 shown]
	v_fma_f64 v[52:53], v[66:67], s[2:3], -v[60:61]
	v_fma_f64 v[54:55], v[64:65], s[10:11], -v[62:63]
	v_add_f64_e64 v[2:3], v[30:31], -v[6:7]
	v_add_f64_e32 v[6:7], v[30:31], v[6:7]
	v_add_f64_e64 v[0:1], v[28:29], -v[4:5]
	v_add_f64_e32 v[4:5], v[28:29], v[4:5]
	v_add_f64_e64 v[10:11], v[8:9], -v[22:23]
	v_add_f64_e64 v[14:15], v[36:37], -v[24:25]
	;; [unrolled: 1-line block ×3, first 2 shown]
	v_add_f64_e32 v[30:31], v[16:17], v[32:33]
	v_add_f64_e32 v[34:35], v[38:39], v[42:43]
	;; [unrolled: 1-line block ×8, first 2 shown]
	v_add_f64_e64 v[38:39], v[38:39], -v[42:43]
	v_add_f64_e64 v[36:37], v[44:45], -v[46:47]
	;; [unrolled: 1-line block ×5, first 2 shown]
	ds_store_b128 v91, v[4:7] offset:2720
	ds_store_b128 v91, v[32:35] offset:5984
	ds_store_b128 v91, v[28:31] offset:9248
	ds_store_b128 v91, v[24:27] offset:12512
	ds_store_b128 v91, v[20:23] offset:15776
	ds_store_b128 v91, v[0:3] offset:19040
	ds_store_b128 v91, v[36:39] offset:22304
	ds_store_b128 v91, v[16:19] offset:25568
	ds_store_b128 v91, v[12:15] offset:28832
	ds_store_b128 v91, v[8:11] offset:32096
.LBB0_23:
	s_wait_alu 0xfffe
	s_or_b32 exec_lo, exec_lo, s1
	global_wb scope:SCOPE_SE
	s_wait_dscnt 0x0
	s_barrier_signal -1
	s_barrier_wait -1
	global_inv scope:SCOPE_SE
	s_and_saveexec_b32 s0, vcc_lo
	s_cbranch_execz .LBB0_25
; %bb.24:
	v_lshl_add_u32 v34, v88, 4, 0
	v_dual_mov_b32 v89, 0 :: v_dual_add_nc_u32 v8, 0xaa, v88
	ds_load_b128 v[0:3], v34
	ds_load_b128 v[4:7], v34 offset:2720
	scratch_load_b64 v[12:13], off, off th:TH_LOAD_LU ; 8-byte Folded Reload
	v_mov_b32_e32 v9, v89
	v_lshlrev_b64_e32 v[10:11], 4, v[88:89]
	v_mov_b32_e32 v15, v89
	v_dual_mov_b32 v23, v89 :: v_dual_add_nc_u32 v24, 0x3fc, v88
	v_dual_mov_b32 v25, v89 :: v_dual_add_nc_u32 v14, 0x1fe, v88
	v_add_nc_u32_e32 v22, 0x352, v88
	s_delay_alu instid0(VALU_DEP_1)
	v_lshlrev_b64_e32 v[22:23], 4, v[22:23]
	s_wait_loadcnt 0x0
	v_add_co_u32 v36, vcc_lo, s8, v12
	s_wait_alu 0xfffd
	v_add_co_ci_u32_e32 v37, vcc_lo, s9, v13, vcc_lo
	v_add_nc_u32_e32 v12, 0x154, v88
	v_lshlrev_b64_e32 v[8:9], 4, v[8:9]
	v_add_co_u32 v10, vcc_lo, v36, v10
	v_mov_b32_e32 v13, v89
	s_wait_alu 0xfffd
	v_add_co_ci_u32_e32 v11, vcc_lo, v37, v11, vcc_lo
	s_delay_alu instid0(VALU_DEP_4)
	v_add_co_u32 v8, vcc_lo, v36, v8
	s_wait_alu 0xfffd
	v_add_co_ci_u32_e32 v9, vcc_lo, v37, v9, vcc_lo
	v_lshlrev_b64_e32 v[12:13], 4, v[12:13]
	s_wait_dscnt 0x1
	global_store_b128 v[10:11], v[0:3], off
	s_wait_dscnt 0x0
	global_store_b128 v[8:9], v[4:7], off
	v_dual_mov_b32 v9, v89 :: v_dual_add_nc_u32 v8, 0x2a8, v88
	ds_load_b128 v[0:3], v34 offset:5440
	ds_load_b128 v[4:7], v34 offset:8160
	v_add_co_u32 v16, vcc_lo, v36, v12
	s_wait_alu 0xfffd
	v_add_co_ci_u32_e32 v17, vcc_lo, v37, v13, vcc_lo
	v_lshlrev_b64_e32 v[18:19], 4, v[14:15]
	v_lshlrev_b64_e32 v[20:21], 4, v[8:9]
	ds_load_b128 v[8:11], v34 offset:10880
	ds_load_b128 v[12:15], v34 offset:13600
	v_add_co_u32 v18, vcc_lo, v36, v18
	s_wait_alu 0xfffd
	v_add_co_ci_u32_e32 v19, vcc_lo, v37, v19, vcc_lo
	v_add_co_u32 v20, vcc_lo, v36, v20
	s_wait_alu 0xfffd
	v_add_co_ci_u32_e32 v21, vcc_lo, v37, v21, vcc_lo
	v_add_co_u32 v22, vcc_lo, v36, v22
	s_wait_dscnt 0x3
	global_store_b128 v[16:17], v[0:3], off
	s_wait_dscnt 0x2
	global_store_b128 v[18:19], v[4:7], off
	v_dual_mov_b32 v3, v89 :: v_dual_add_nc_u32 v2, 0x4a6, v88
	s_wait_alu 0xfffd
	v_add_co_ci_u32_e32 v23, vcc_lo, v37, v23, vcc_lo
	v_lshlrev_b64_e32 v[0:1], 4, v[24:25]
	s_wait_dscnt 0x1
	global_store_b128 v[20:21], v[8:11], off
	s_wait_dscnt 0x0
	global_store_b128 v[22:23], v[12:15], off
	v_add_nc_u32_e32 v10, 0x550, v88
	v_lshlrev_b64_e32 v[8:9], 4, v[2:3]
	v_dual_mov_b32 v11, v89 :: v_dual_add_nc_u32 v16, 0x5fa, v88
	v_add_co_u32 v24, vcc_lo, v36, v0
	s_wait_alu 0xfffd
	v_add_co_ci_u32_e32 v25, vcc_lo, v37, v1, vcc_lo
	s_delay_alu instid0(VALU_DEP_4)
	v_add_co_u32 v26, vcc_lo, v36, v8
	s_wait_alu 0xfffd
	v_add_co_ci_u32_e32 v27, vcc_lo, v37, v9, vcc_lo
	v_lshlrev_b64_e32 v[8:9], 4, v[10:11]
	v_dual_mov_b32 v17, v89 :: v_dual_add_nc_u32 v18, 0x6a4, v88
	v_dual_mov_b32 v19, v89 :: v_dual_add_nc_u32 v88, 0x74e, v88
	ds_load_b128 v[0:3], v34 offset:16320
	ds_load_b128 v[4:7], v34 offset:19040
	v_add_co_u32 v28, vcc_lo, v36, v8
	s_wait_alu 0xfffd
	v_add_co_ci_u32_e32 v29, vcc_lo, v37, v9, vcc_lo
	ds_load_b128 v[8:11], v34 offset:21760
	ds_load_b128 v[12:15], v34 offset:24480
	v_lshlrev_b64_e32 v[30:31], 4, v[16:17]
	v_lshlrev_b64_e32 v[32:33], 4, v[18:19]
	ds_load_b128 v[16:19], v34 offset:27200
	ds_load_b128 v[20:23], v34 offset:29920
	v_lshlrev_b64_e32 v[34:35], 4, v[88:89]
	v_add_co_u32 v30, vcc_lo, v36, v30
	s_wait_alu 0xfffd
	v_add_co_ci_u32_e32 v31, vcc_lo, v37, v31, vcc_lo
	v_add_co_u32 v32, vcc_lo, v36, v32
	s_wait_alu 0xfffd
	v_add_co_ci_u32_e32 v33, vcc_lo, v37, v33, vcc_lo
	;; [unrolled: 3-line block ×3, first 2 shown]
	s_wait_dscnt 0x5
	global_store_b128 v[24:25], v[0:3], off
	s_wait_dscnt 0x4
	global_store_b128 v[26:27], v[4:7], off
	s_wait_dscnt 0x3
	global_store_b128 v[28:29], v[8:11], off
	s_wait_dscnt 0x2
	global_store_b128 v[30:31], v[12:15], off
	s_wait_dscnt 0x1
	global_store_b128 v[32:33], v[16:19], off
	s_wait_dscnt 0x0
	global_store_b128 v[34:35], v[20:23], off
.LBB0_25:
	s_nop 0
	s_sendmsg sendmsg(MSG_DEALLOC_VGPRS)
	s_endpgm
	.section	.rodata,"a",@progbits
	.p2align	6, 0x0
	.amdhsa_kernel fft_rtc_fwd_len2040_factors_17_4_3_10_wgs_170_tpt_170_halfLds_dp_ip_CI_unitstride_sbrr_C2R_dirReg
		.amdhsa_group_segment_fixed_size 0
		.amdhsa_private_segment_fixed_size 252
		.amdhsa_kernarg_size 88
		.amdhsa_user_sgpr_count 2
		.amdhsa_user_sgpr_dispatch_ptr 0
		.amdhsa_user_sgpr_queue_ptr 0
		.amdhsa_user_sgpr_kernarg_segment_ptr 1
		.amdhsa_user_sgpr_dispatch_id 0
		.amdhsa_user_sgpr_private_segment_size 0
		.amdhsa_wavefront_size32 1
		.amdhsa_uses_dynamic_stack 0
		.amdhsa_enable_private_segment 1
		.amdhsa_system_sgpr_workgroup_id_x 1
		.amdhsa_system_sgpr_workgroup_id_y 0
		.amdhsa_system_sgpr_workgroup_id_z 0
		.amdhsa_system_sgpr_workgroup_info 0
		.amdhsa_system_vgpr_workitem_id 0
		.amdhsa_next_free_vgpr 256
		.amdhsa_next_free_sgpr 56
		.amdhsa_reserve_vcc 1
		.amdhsa_float_round_mode_32 0
		.amdhsa_float_round_mode_16_64 0
		.amdhsa_float_denorm_mode_32 3
		.amdhsa_float_denorm_mode_16_64 3
		.amdhsa_fp16_overflow 0
		.amdhsa_workgroup_processor_mode 1
		.amdhsa_memory_ordered 1
		.amdhsa_forward_progress 0
		.amdhsa_round_robin_scheduling 0
		.amdhsa_exception_fp_ieee_invalid_op 0
		.amdhsa_exception_fp_denorm_src 0
		.amdhsa_exception_fp_ieee_div_zero 0
		.amdhsa_exception_fp_ieee_overflow 0
		.amdhsa_exception_fp_ieee_underflow 0
		.amdhsa_exception_fp_ieee_inexact 0
		.amdhsa_exception_int_div_zero 0
	.end_amdhsa_kernel
	.text
.Lfunc_end0:
	.size	fft_rtc_fwd_len2040_factors_17_4_3_10_wgs_170_tpt_170_halfLds_dp_ip_CI_unitstride_sbrr_C2R_dirReg, .Lfunc_end0-fft_rtc_fwd_len2040_factors_17_4_3_10_wgs_170_tpt_170_halfLds_dp_ip_CI_unitstride_sbrr_C2R_dirReg
                                        ; -- End function
	.section	.AMDGPU.csdata,"",@progbits
; Kernel info:
; codeLenInByte = 15628
; NumSgprs: 58
; NumVgprs: 256
; ScratchSize: 252
; MemoryBound: 0
; FloatMode: 240
; IeeeMode: 1
; LDSByteSize: 0 bytes/workgroup (compile time only)
; SGPRBlocks: 7
; VGPRBlocks: 31
; NumSGPRsForWavesPerEU: 58
; NumVGPRsForWavesPerEU: 256
; Occupancy: 5
; WaveLimiterHint : 1
; COMPUTE_PGM_RSRC2:SCRATCH_EN: 1
; COMPUTE_PGM_RSRC2:USER_SGPR: 2
; COMPUTE_PGM_RSRC2:TRAP_HANDLER: 0
; COMPUTE_PGM_RSRC2:TGID_X_EN: 1
; COMPUTE_PGM_RSRC2:TGID_Y_EN: 0
; COMPUTE_PGM_RSRC2:TGID_Z_EN: 0
; COMPUTE_PGM_RSRC2:TIDIG_COMP_CNT: 0
	.text
	.p2alignl 7, 3214868480
	.fill 96, 4, 3214868480
	.type	__hip_cuid_678e154e055ff80a,@object ; @__hip_cuid_678e154e055ff80a
	.section	.bss,"aw",@nobits
	.globl	__hip_cuid_678e154e055ff80a
__hip_cuid_678e154e055ff80a:
	.byte	0                               ; 0x0
	.size	__hip_cuid_678e154e055ff80a, 1

	.ident	"AMD clang version 19.0.0git (https://github.com/RadeonOpenCompute/llvm-project roc-6.4.0 25133 c7fe45cf4b819c5991fe208aaa96edf142730f1d)"
	.section	".note.GNU-stack","",@progbits
	.addrsig
	.addrsig_sym __hip_cuid_678e154e055ff80a
	.amdgpu_metadata
---
amdhsa.kernels:
  - .args:
      - .actual_access:  read_only
        .address_space:  global
        .offset:         0
        .size:           8
        .value_kind:     global_buffer
      - .offset:         8
        .size:           8
        .value_kind:     by_value
      - .actual_access:  read_only
        .address_space:  global
        .offset:         16
        .size:           8
        .value_kind:     global_buffer
      - .actual_access:  read_only
        .address_space:  global
        .offset:         24
        .size:           8
        .value_kind:     global_buffer
      - .offset:         32
        .size:           8
        .value_kind:     by_value
      - .actual_access:  read_only
        .address_space:  global
        .offset:         40
        .size:           8
        .value_kind:     global_buffer
      - .actual_access:  read_only
        .address_space:  global
        .offset:         48
        .size:           8
        .value_kind:     global_buffer
      - .offset:         56
        .size:           4
        .value_kind:     by_value
      - .actual_access:  read_only
        .address_space:  global
        .offset:         64
        .size:           8
        .value_kind:     global_buffer
      - .actual_access:  read_only
        .address_space:  global
        .offset:         72
        .size:           8
        .value_kind:     global_buffer
      - .address_space:  global
        .offset:         80
        .size:           8
        .value_kind:     global_buffer
    .group_segment_fixed_size: 0
    .kernarg_segment_align: 8
    .kernarg_segment_size: 88
    .language:       OpenCL C
    .language_version:
      - 2
      - 0
    .max_flat_workgroup_size: 170
    .name:           fft_rtc_fwd_len2040_factors_17_4_3_10_wgs_170_tpt_170_halfLds_dp_ip_CI_unitstride_sbrr_C2R_dirReg
    .private_segment_fixed_size: 252
    .sgpr_count:     58
    .sgpr_spill_count: 0
    .symbol:         fft_rtc_fwd_len2040_factors_17_4_3_10_wgs_170_tpt_170_halfLds_dp_ip_CI_unitstride_sbrr_C2R_dirReg.kd
    .uniform_work_group_size: 1
    .uses_dynamic_stack: false
    .vgpr_count:     256
    .vgpr_spill_count: 62
    .wavefront_size: 32
    .workgroup_processor_mode: 1
amdhsa.target:   amdgcn-amd-amdhsa--gfx1201
amdhsa.version:
  - 1
  - 2
...

	.end_amdgpu_metadata
